;; amdgpu-corpus repo=ROCm/rocBLAS kind=compiled arch=gfx906 opt=O3
	.amdgcn_target "amdgcn-amd-amdhsa--gfx906"
	.amdhsa_code_object_version 6
	.section	.text._ZL19rocblas_hpmv_kernelILi64ELi16EPK19rocblas_complex_numIfES3_PS1_EvbiT1_T2_llS6_lllS5_T3_llli,"axG",@progbits,_ZL19rocblas_hpmv_kernelILi64ELi16EPK19rocblas_complex_numIfES3_PS1_EvbiT1_T2_llS6_lllS5_T3_llli,comdat
	.globl	_ZL19rocblas_hpmv_kernelILi64ELi16EPK19rocblas_complex_numIfES3_PS1_EvbiT1_T2_llS6_lllS5_T3_llli ; -- Begin function _ZL19rocblas_hpmv_kernelILi64ELi16EPK19rocblas_complex_numIfES3_PS1_EvbiT1_T2_llS6_lllS5_T3_llli
	.p2align	8
	.type	_ZL19rocblas_hpmv_kernelILi64ELi16EPK19rocblas_complex_numIfES3_PS1_EvbiT1_T2_llS6_lllS5_T3_llli,@function
_ZL19rocblas_hpmv_kernelILi64ELi16EPK19rocblas_complex_numIfES3_PS1_EvbiT1_T2_llS6_lllS5_T3_llli: ; @_ZL19rocblas_hpmv_kernelILi64ELi16EPK19rocblas_complex_numIfES3_PS1_EvbiT1_T2_llS6_lllS5_T3_llli
; %bb.0:
	s_load_dwordx16 s[8:23], s[4:5], 0x8
	s_load_dwordx8 s[24:31], s[4:5], 0x48
	s_waitcnt lgkmcnt(0)
	s_load_dwordx2 s[36:37], s[8:9], 0x0
	s_load_dwordx2 s[34:35], s[24:25], 0x0
	s_waitcnt lgkmcnt(0)
	v_cmp_neq_f32_e64 s[0:1], s36, 0
	v_cmp_neq_f32_e64 s[2:3], s37, 0
	s_or_b64 s[2:3], s[0:1], s[2:3]
	s_mov_b64 s[0:1], -1
	s_and_b64 vcc, exec, s[2:3]
	s_cbranch_vccnz .LBB0_2
; %bb.1:
	v_cmp_neq_f32_e64 s[0:1], s34, 1.0
	v_cmp_neq_f32_e64 s[2:3], s35, 0
	s_or_b64 s[0:1], s[0:1], s[2:3]
.LBB0_2:
	s_andn2_b64 vcc, exec, s[0:1]
	s_cbranch_vccnz .LBB0_24
; %bb.3:
	s_load_dwordx2 s[0:1], s[4:5], 0x68
	s_load_dwordx2 s[24:25], s[4:5], 0x0
	v_lshlrev_b32_e32 v8, 6, v1
	v_and_b32_e32 v11, 63, v0
	v_add_u32_e32 v9, v8, v0
	s_waitcnt lgkmcnt(0)
	s_mul_i32 s1, s1, s7
	s_mul_hi_u32 s2, s0, s7
	s_mul_i32 s0, s0, s7
	s_add_i32 s1, s2, s1
	s_lshl_b64 s[0:1], s[0:1], 3
	s_add_u32 s2, s26, s0
	s_addc_u32 s3, s27, s1
	s_lshl_b64 s[0:1], s[28:29], 3
	s_add_u32 s28, s2, s0
	s_addc_u32 s29, s3, s1
	s_lshl_b32 s4, s6, 6
	s_or_b32 s0, s36, s37
	v_or_b32_e32 v10, s4, v11
	s_bitset0_b32 s0, 31
	s_cmp_lg_u32 s0, 0
	s_mov_b64 s[2:3], -1
	v_cmp_gt_i32_e32 vcc, s25, v10
	v_cmp_gt_u32_e64 s[0:1], 64, v9
	s_cbranch_scc1 .LBB0_10
; %bb.4:
	s_and_b64 s[2:3], s[0:1], vcc
	s_and_saveexec_b64 s[0:1], s[2:3]
	s_cbranch_execz .LBB0_9
; %bb.5:
	v_add_u32_e32 v2, s6, v1
	v_lshl_or_b32 v2, v2, 6, v0
	v_cmp_gt_i32_e32 vcc, s25, v2
	s_and_b64 exec, exec, vcc
	s_cbranch_execz .LBB0_9
; %bb.6:
	v_ashrrev_i32_e32 v3, 31, v2
	v_mul_lo_u32 v5, s31, v2
	v_mul_lo_u32 v6, s30, v3
	v_mad_u64_u32 v[3:4], s[2:3], s30, v2, 0
	v_cmp_neq_f32_e64 s[2:3], s34, 0
	v_cmp_neq_f32_e64 s[8:9], s35, 0
	v_add3_u32 v4, v4, v6, v5
	s_or_b64 s[2:3], s[2:3], s[8:9]
	v_lshlrev_b64 v[4:5], 3, v[3:4]
	v_mov_b32_e32 v2, 0
	s_andn2_b64 vcc, exec, s[2:3]
	v_mov_b32_e32 v3, 0
	s_cbranch_vccnz .LBB0_8
; %bb.7:
	v_mov_b32_e32 v3, s29
	v_add_co_u32_e32 v2, vcc, s28, v4
	v_addc_co_u32_e32 v3, vcc, v3, v5, vcc
	global_load_dwordx2 v[6:7], v[2:3], off
	s_waitcnt vmcnt(0)
	v_mul_f32_e32 v2, s35, v7
	v_mul_f32_e32 v3, s34, v7
	v_fma_f32 v2, s34, v6, -v2
	v_fmac_f32_e32 v3, s35, v6
.LBB0_8:
	v_mov_b32_e32 v6, s29
	v_add_co_u32_e32 v4, vcc, s28, v4
	v_addc_co_u32_e32 v5, vcc, v6, v5, vcc
	global_store_dwordx2 v[4:5], v[2:3], off
.LBB0_9:
	s_or_b64 exec, exec, s[0:1]
	s_mov_b64 s[2:3], 0
.LBB0_10:
	s_andn2_b64 vcc, exec, s[2:3]
	s_cbranch_vccnz .LBB0_24
; %bb.11:
	v_lshrrev_b32_e32 v12, 6, v9
	v_cmp_gt_i32_e32 vcc, s25, v12
	v_mov_b32_e32 v3, 0
	v_mov_b32_e32 v2, 0
	s_and_saveexec_b64 s[26:27], vcc
	s_cbranch_execz .LBB0_19
; %bb.12:
	s_mul_i32 s0, s15, s7
	s_mul_hi_u32 s1, s14, s7
	s_add_i32 s1, s1, s0
	s_mul_i32 s0, s14, s7
	s_lshl_b64 s[0:1], s[0:1], 3
	s_add_u32 s2, s10, s0
	s_addc_u32 s5, s11, s1
	s_lshl_b64 s[0:1], s[12:13], 3
	s_add_u32 s33, s2, s0
	v_lshrrev_b32_e32 v4, 6, v9
	v_mad_u64_u32 v[2:3], s[2:3], s20, v4, 0
	s_addc_u32 s38, s5, s1
	s_bitcmp1_b32 s24, 0
	s_cselect_b64 vcc, -1, 0
	s_lshl_b32 s2, s25, 1
	s_or_b32 s24, s2, 1
	s_mul_i32 s2, s23, s7
	s_mul_hi_u32 s3, s22, s7
	v_mad_u64_u32 v[3:4], s[0:1], s21, v4, v[3:4]
	s_add_i32 s3, s3, s2
	s_mul_i32 s2, s22, s7
	s_lshl_b64 s[2:3], s[2:3], 3
	s_lshl_b64 s[8:9], s[18:19], 3
	s_add_u32 s5, s16, s8
	s_addc_u32 s7, s17, s9
	v_lshlrev_b64 v[2:3], 3, v[2:3]
	s_add_u32 s2, s5, s2
	s_addc_u32 s3, s7, s3
	v_mov_b32_e32 v4, s3
	v_add_co_u32_e64 v2, s[2:3], s2, v2
	v_addc_co_u32_e64 v3, s[2:3], v4, v3, s[2:3]
	v_add_co_u32_e64 v4, s[2:3], 4, v2
	v_addc_co_u32_e64 v5, s[2:3], 0, v3, s[2:3]
	s_lshl_b64 s[10:11], s[20:21], 7
	v_mov_b32_e32 v3, 0
	v_cmp_gt_i32_e64 s[0:1], s25, v10
	v_add_u32_e32 v13, s4, v11
	s_mov_b64 s[12:13], 0
	s_xor_b64 s[14:15], vcc, -1
	v_mov_b32_e32 v14, s11
	v_mov_b32_e32 v2, v3
	s_branch .LBB0_15
.LBB0_13:                               ;   in Loop: Header=BB0_15 Depth=1
	s_or_b64 exec, exec, s[8:9]
	global_load_dwordx2 v[16:17], v[4:5], off offset:-4
	global_load_dword v18, v[6:7], off
	s_waitcnt vmcnt(1)
	v_mul_f32_e32 v6, v15, v17
	s_waitcnt vmcnt(0)
	v_mul_f32_e32 v7, v18, v17
	v_fma_f32 v6, v18, v16, -v6
	v_fmac_f32_e32 v7, v15, v16
	v_add_f32_e32 v2, v2, v6
	v_add_f32_e32 v3, v3, v7
.LBB0_14:                               ;   in Loop: Header=BB0_15 Depth=1
	s_or_b64 exec, exec, s[16:17]
	v_add_u32_e32 v12, 16, v12
	v_cmp_le_i32_e64 s[2:3], s25, v12
	s_or_b64 s[12:13], s[2:3], s[12:13]
	v_add_co_u32_e64 v4, s[2:3], s10, v4
	v_addc_co_u32_e64 v5, s[2:3], v5, v14, s[2:3]
	s_andn2_b64 exec, exec, s[12:13]
	s_cbranch_execz .LBB0_18
.LBB0_15:                               ; =>This Inner Loop Header: Depth=1
	s_and_saveexec_b64 s[16:17], s[0:1]
	s_cbranch_execz .LBB0_14
; %bb.16:                               ;   in Loop: Header=BB0_15 Depth=1
	v_cmp_le_i32_e64 s[2:3], v10, v12
	s_or_b64 s[4:5], s[14:15], s[2:3]
	v_cmp_ge_i32_e64 s[2:3], v10, v12
	s_or_b64 s[2:3], vcc, s[2:3]
	s_and_b64 s[2:3], s[4:5], s[2:3]
	v_cndmask_b32_e64 v16, v10, v12, s[2:3]
	v_sub_u32_e32 v6, s24, v16
	v_add_u32_e32 v7, 1, v16
	v_cndmask_b32_e32 v6, v6, v7, vcc
	v_mad_i64_i32 v[6:7], s[4:5], v6, v16, 0
	v_cndmask_b32_e64 v15, v12, v10, s[2:3]
	v_cndmask_b32_e64 v16, v16, 0, vcc
	v_sub_u32_e32 v15, v15, v16
	v_lshrrev_b32_e32 v16, 31, v7
	v_add_co_u32_e64 v6, s[4:5], v6, v16
	v_addc_co_u32_e64 v7, s[4:5], 0, v7, s[4:5]
	v_lshlrev_b64 v[6:7], 2, v[6:7]
	v_ashrrev_i32_e32 v16, 31, v15
	v_and_b32_e32 v6, -8, v6
	v_mov_b32_e32 v17, s38
	v_add_co_u32_e64 v18, s[8:9], s33, v6
	v_addc_co_u32_e64 v17, s[8:9], v17, v7, s[8:9]
	v_lshlrev_b64 v[6:7], 3, v[15:16]
	v_cmp_ne_u32_e64 s[4:5], v13, v12
	v_add_co_u32_e64 v6, s[8:9], v18, v6
	v_addc_co_u32_e64 v7, s[8:9], v17, v7, s[8:9]
	v_mov_b32_e32 v15, 0
	s_and_saveexec_b64 s[8:9], s[4:5]
	s_cbranch_execz .LBB0_13
; %bb.17:                               ;   in Loop: Header=BB0_15 Depth=1
	global_load_dword v15, v[6:7], off offset:4
	s_waitcnt vmcnt(0)
	v_cndmask_b32_e64 v15, -v15, v15, s[2:3]
	s_branch .LBB0_13
.LBB0_18:
	s_or_b64 exec, exec, s[12:13]
.LBB0_19:
	s_or_b64 exec, exec, s[26:27]
	s_mov_b32 s0, 0x1ffc0
	v_and_or_b32 v4, v9, s0, v11
	v_cmp_gt_u32_e32 vcc, 64, v9
	v_cmp_gt_i32_e64 s[0:1], s25, v10
	v_lshlrev_b32_e32 v4, 3, v4
	s_and_b64 s[0:1], vcc, s[0:1]
	ds_write_b64 v4, v[2:3]
	s_waitcnt vmcnt(0) lgkmcnt(0)
	s_barrier
	s_and_saveexec_b64 s[2:3], s[0:1]
	s_cbranch_execz .LBB0_24
; %bb.20:
	v_lshlrev_b32_e32 v2, 3, v0
	v_lshl_add_u32 v12, v8, 3, v2
	ds_read_b64 v[10:11], v12
	v_lshl_add_u32 v13, v1, 9, v2
	ds_read2st64_b64 v[2:5], v13 offset0:1 offset1:2
	ds_read2st64_b64 v[6:9], v13 offset0:3 offset1:4
	v_add_u32_e32 v1, s6, v1
	v_lshl_or_b32 v0, v1, 6, v0
	v_mov_b32_e32 v1, 0
	s_waitcnt lgkmcnt(1)
	v_add_f32_e32 v2, v10, v2
	v_add_f32_e32 v3, v11, v3
	;; [unrolled: 1-line block ×4, first 2 shown]
	s_waitcnt lgkmcnt(0)
	v_add_f32_e32 v6, v2, v6
	ds_read2st64_b64 v[2:5], v13 offset0:5 offset1:6
	v_add_f32_e32 v7, v10, v7
	v_add_f32_e32 v10, v6, v8
	;; [unrolled: 1-line block ×3, first 2 shown]
	ds_read2st64_b64 v[6:9], v13 offset0:7 offset1:8
	s_waitcnt lgkmcnt(1)
	v_add_f32_e32 v2, v10, v2
	v_add_f32_e32 v3, v11, v3
	v_add_f32_e32 v2, v2, v4
	v_add_f32_e32 v10, v3, v5
	s_waitcnt lgkmcnt(0)
	v_add_f32_e32 v6, v2, v6
	ds_read2st64_b64 v[2:5], v13 offset0:9 offset1:10
	v_add_f32_e32 v7, v10, v7
	v_add_f32_e32 v10, v6, v8
	;; [unrolled: 1-line block ×3, first 2 shown]
	ds_read2st64_b64 v[6:9], v13 offset0:11 offset1:12
	s_waitcnt lgkmcnt(1)
	v_add_f32_e32 v2, v10, v2
	v_add_f32_e32 v3, v11, v3
	ds_write_b64 v12, v[2:3]
	v_add_f32_e32 v2, v2, v4
	v_add_f32_e32 v3, v3, v5
	ds_write_b64 v12, v[2:3]
	s_waitcnt lgkmcnt(2)
	v_add_f32_e32 v6, v2, v6
	v_add_f32_e32 v7, v3, v7
	ds_read2st64_b64 v[2:5], v13 offset0:13 offset1:14
	ds_write_b64 v12, v[6:7]
	v_add_f32_e32 v6, v6, v8
	v_add_f32_e32 v7, v7, v9
	ds_read_b64 v[8:9], v13 offset:7680
	s_waitcnt lgkmcnt(2)
	v_add_f32_e32 v2, v6, v2
	v_add_f32_e32 v3, v7, v3
	s_ashr_i32 s1, s25, 31
	s_mov_b32 s0, s25
	ds_write_b64 v12, v[6:7]
	ds_write_b64 v12, v[2:3]
	v_add_f32_e32 v2, v2, v4
	v_add_f32_e32 v3, v3, v5
	v_cmp_gt_i64_e32 vcc, s[0:1], v[0:1]
	ds_write_b64 v12, v[2:3]
	s_waitcnt lgkmcnt(3)
	v_add_f32_e32 v2, v2, v8
	v_add_f32_e32 v3, v3, v9
	ds_write_b64 v12, v[2:3]
	s_and_b64 exec, exec, vcc
	s_cbranch_execz .LBB0_24
; %bb.21:
	v_mad_u64_u32 v[4:5], s[0:1], s30, v0, 0
	v_cmp_neq_f32_e64 s[0:1], s34, 0
	v_cmp_neq_f32_e64 s[2:3], s35, 0
	v_mov_b32_e32 v1, v5
	v_mad_u64_u32 v[5:6], s[4:5], s31, v0, v[1:2]
	v_mul_f32_e32 v0, s37, v3
	v_mul_f32_e32 v1, s36, v3
	s_or_b64 s[0:1], s[0:1], s[2:3]
	v_lshlrev_b64 v[3:4], 3, v[4:5]
	v_fma_f32 v0, v2, s36, -v0
	s_andn2_b64 vcc, exec, s[0:1]
	v_fmac_f32_e32 v1, s37, v2
	s_cbranch_vccnz .LBB0_23
; %bb.22:
	v_mov_b32_e32 v2, s29
	v_add_co_u32_e32 v5, vcc, s28, v3
	v_addc_co_u32_e32 v6, vcc, v2, v4, vcc
	global_load_dwordx2 v[5:6], v[5:6], off
	s_waitcnt vmcnt(0)
	v_mul_f32_e32 v2, s35, v6
	v_mul_f32_e32 v6, s34, v6
	v_fma_f32 v2, s34, v5, -v2
	v_fmac_f32_e32 v6, s35, v5
	v_add_f32_e32 v0, v0, v2
	v_add_f32_e32 v1, v1, v6
.LBB0_23:
	v_mov_b32_e32 v5, s29
	v_add_co_u32_e32 v2, vcc, s28, v3
	v_addc_co_u32_e32 v3, vcc, v5, v4, vcc
	global_store_dwordx2 v[2:3], v[0:1], off
.LBB0_24:
	s_endpgm
	.section	.rodata,"a",@progbits
	.p2align	6, 0x0
	.amdhsa_kernel _ZL19rocblas_hpmv_kernelILi64ELi16EPK19rocblas_complex_numIfES3_PS1_EvbiT1_T2_llS6_lllS5_T3_llli
		.amdhsa_group_segment_fixed_size 8192
		.amdhsa_private_segment_fixed_size 0
		.amdhsa_kernarg_size 116
		.amdhsa_user_sgpr_count 6
		.amdhsa_user_sgpr_private_segment_buffer 1
		.amdhsa_user_sgpr_dispatch_ptr 0
		.amdhsa_user_sgpr_queue_ptr 0
		.amdhsa_user_sgpr_kernarg_segment_ptr 1
		.amdhsa_user_sgpr_dispatch_id 0
		.amdhsa_user_sgpr_flat_scratch_init 0
		.amdhsa_user_sgpr_private_segment_size 0
		.amdhsa_uses_dynamic_stack 0
		.amdhsa_system_sgpr_private_segment_wavefront_offset 0
		.amdhsa_system_sgpr_workgroup_id_x 1
		.amdhsa_system_sgpr_workgroup_id_y 0
		.amdhsa_system_sgpr_workgroup_id_z 1
		.amdhsa_system_sgpr_workgroup_info 0
		.amdhsa_system_vgpr_workitem_id 1
		.amdhsa_next_free_vgpr 29
		.amdhsa_next_free_sgpr 61
		.amdhsa_reserve_vcc 1
		.amdhsa_reserve_flat_scratch 0
		.amdhsa_float_round_mode_32 0
		.amdhsa_float_round_mode_16_64 0
		.amdhsa_float_denorm_mode_32 3
		.amdhsa_float_denorm_mode_16_64 3
		.amdhsa_dx10_clamp 1
		.amdhsa_ieee_mode 1
		.amdhsa_fp16_overflow 0
		.amdhsa_exception_fp_ieee_invalid_op 0
		.amdhsa_exception_fp_denorm_src 0
		.amdhsa_exception_fp_ieee_div_zero 0
		.amdhsa_exception_fp_ieee_overflow 0
		.amdhsa_exception_fp_ieee_underflow 0
		.amdhsa_exception_fp_ieee_inexact 0
		.amdhsa_exception_int_div_zero 0
	.end_amdhsa_kernel
	.section	.text._ZL19rocblas_hpmv_kernelILi64ELi16EPK19rocblas_complex_numIfES3_PS1_EvbiT1_T2_llS6_lllS5_T3_llli,"axG",@progbits,_ZL19rocblas_hpmv_kernelILi64ELi16EPK19rocblas_complex_numIfES3_PS1_EvbiT1_T2_llS6_lllS5_T3_llli,comdat
.Lfunc_end0:
	.size	_ZL19rocblas_hpmv_kernelILi64ELi16EPK19rocblas_complex_numIfES3_PS1_EvbiT1_T2_llS6_lllS5_T3_llli, .Lfunc_end0-_ZL19rocblas_hpmv_kernelILi64ELi16EPK19rocblas_complex_numIfES3_PS1_EvbiT1_T2_llS6_lllS5_T3_llli
                                        ; -- End function
	.set _ZL19rocblas_hpmv_kernelILi64ELi16EPK19rocblas_complex_numIfES3_PS1_EvbiT1_T2_llS6_lllS5_T3_llli.num_vgpr, 19
	.set _ZL19rocblas_hpmv_kernelILi64ELi16EPK19rocblas_complex_numIfES3_PS1_EvbiT1_T2_llS6_lllS5_T3_llli.num_agpr, 0
	.set _ZL19rocblas_hpmv_kernelILi64ELi16EPK19rocblas_complex_numIfES3_PS1_EvbiT1_T2_llS6_lllS5_T3_llli.numbered_sgpr, 39
	.set _ZL19rocblas_hpmv_kernelILi64ELi16EPK19rocblas_complex_numIfES3_PS1_EvbiT1_T2_llS6_lllS5_T3_llli.num_named_barrier, 0
	.set _ZL19rocblas_hpmv_kernelILi64ELi16EPK19rocblas_complex_numIfES3_PS1_EvbiT1_T2_llS6_lllS5_T3_llli.private_seg_size, 0
	.set _ZL19rocblas_hpmv_kernelILi64ELi16EPK19rocblas_complex_numIfES3_PS1_EvbiT1_T2_llS6_lllS5_T3_llli.uses_vcc, 1
	.set _ZL19rocblas_hpmv_kernelILi64ELi16EPK19rocblas_complex_numIfES3_PS1_EvbiT1_T2_llS6_lllS5_T3_llli.uses_flat_scratch, 0
	.set _ZL19rocblas_hpmv_kernelILi64ELi16EPK19rocblas_complex_numIfES3_PS1_EvbiT1_T2_llS6_lllS5_T3_llli.has_dyn_sized_stack, 0
	.set _ZL19rocblas_hpmv_kernelILi64ELi16EPK19rocblas_complex_numIfES3_PS1_EvbiT1_T2_llS6_lllS5_T3_llli.has_recursion, 0
	.set _ZL19rocblas_hpmv_kernelILi64ELi16EPK19rocblas_complex_numIfES3_PS1_EvbiT1_T2_llS6_lllS5_T3_llli.has_indirect_call, 0
	.section	.AMDGPU.csdata,"",@progbits
; Kernel info:
; codeLenInByte = 1496
; TotalNumSgprs: 43
; NumVgprs: 19
; ScratchSize: 0
; MemoryBound: 0
; FloatMode: 240
; IeeeMode: 1
; LDSByteSize: 8192 bytes/workgroup (compile time only)
; SGPRBlocks: 8
; VGPRBlocks: 7
; NumSGPRsForWavesPerEU: 65
; NumVGPRsForWavesPerEU: 29
; Occupancy: 8
; WaveLimiterHint : 0
; COMPUTE_PGM_RSRC2:SCRATCH_EN: 0
; COMPUTE_PGM_RSRC2:USER_SGPR: 6
; COMPUTE_PGM_RSRC2:TRAP_HANDLER: 0
; COMPUTE_PGM_RSRC2:TGID_X_EN: 1
; COMPUTE_PGM_RSRC2:TGID_Y_EN: 0
; COMPUTE_PGM_RSRC2:TGID_Z_EN: 1
; COMPUTE_PGM_RSRC2:TIDIG_COMP_CNT: 1
	.section	.text._ZL19rocblas_hpmv_kernelILi64ELi16E19rocblas_complex_numIfEPKS1_PS1_EvbiT1_T2_llS6_lllS5_T3_llli,"axG",@progbits,_ZL19rocblas_hpmv_kernelILi64ELi16E19rocblas_complex_numIfEPKS1_PS1_EvbiT1_T2_llS6_lllS5_T3_llli,comdat
	.globl	_ZL19rocblas_hpmv_kernelILi64ELi16E19rocblas_complex_numIfEPKS1_PS1_EvbiT1_T2_llS6_lllS5_T3_llli ; -- Begin function _ZL19rocblas_hpmv_kernelILi64ELi16E19rocblas_complex_numIfEPKS1_PS1_EvbiT1_T2_llS6_lllS5_T3_llli
	.p2align	8
	.type	_ZL19rocblas_hpmv_kernelILi64ELi16E19rocblas_complex_numIfEPKS1_PS1_EvbiT1_T2_llS6_lllS5_T3_llli,@function
_ZL19rocblas_hpmv_kernelILi64ELi16E19rocblas_complex_numIfEPKS1_PS1_EvbiT1_T2_llS6_lllS5_T3_llli: ; @_ZL19rocblas_hpmv_kernelILi64ELi16E19rocblas_complex_numIfEPKS1_PS1_EvbiT1_T2_llS6_lllS5_T3_llli
; %bb.0:
	s_load_dwordx4 s[36:39], s[4:5], 0x0
	s_load_dwordx2 s[34:35], s[4:5], 0x48
	s_waitcnt lgkmcnt(0)
	v_cmp_neq_f32_e64 s[0:1], s38, 0
	v_cmp_neq_f32_e64 s[2:3], s39, 0
	s_or_b64 s[2:3], s[0:1], s[2:3]
	s_mov_b64 s[0:1], -1
	s_and_b64 vcc, exec, s[2:3]
	s_cbranch_vccnz .LBB1_2
; %bb.1:
	v_cmp_neq_f32_e64 s[0:1], s34, 1.0
	v_cmp_neq_f32_e64 s[2:3], s35, 0
	s_or_b64 s[0:1], s[0:1], s[2:3]
.LBB1_2:
	s_andn2_b64 vcc, exec, s[0:1]
	s_cbranch_vccnz .LBB1_24
; %bb.3:
	s_load_dwordx8 s[8:15], s[4:5], 0x50
	v_lshlrev_b32_e32 v8, 6, v1
	v_and_b32_e32 v11, 63, v0
	v_add_u32_e32 v9, v8, v0
	s_waitcnt lgkmcnt(0)
	s_mul_i32 s1, s15, s7
	s_mul_hi_u32 s2, s14, s7
	s_mul_i32 s0, s14, s7
	s_add_i32 s1, s2, s1
	s_lshl_b64 s[0:1], s[0:1], 3
	s_add_u32 s2, s8, s0
	s_addc_u32 s3, s9, s1
	s_lshl_b64 s[0:1], s[10:11], 3
	s_add_u32 s33, s2, s0
	s_addc_u32 s40, s3, s1
	s_lshl_b32 s8, s6, 6
	s_or_b32 s0, s38, s39
	v_or_b32_e32 v10, s8, v11
	s_bitset0_b32 s0, 31
	s_cmp_lg_u32 s0, 0
	s_mov_b64 s[2:3], -1
	v_cmp_gt_i32_e32 vcc, s37, v10
	v_cmp_gt_u32_e64 s[0:1], 64, v9
	s_cbranch_scc1 .LBB1_10
; %bb.4:
	s_and_b64 s[2:3], s[0:1], vcc
	s_and_saveexec_b64 s[0:1], s[2:3]
	s_cbranch_execz .LBB1_9
; %bb.5:
	v_add_u32_e32 v2, s6, v1
	v_lshl_or_b32 v2, v2, 6, v0
	v_cmp_gt_i32_e32 vcc, s37, v2
	s_and_b64 exec, exec, vcc
	s_cbranch_execz .LBB1_9
; %bb.6:
	v_ashrrev_i32_e32 v3, 31, v2
	v_mul_lo_u32 v5, s13, v2
	v_mul_lo_u32 v6, s12, v3
	v_mad_u64_u32 v[3:4], s[2:3], s12, v2, 0
	v_cmp_neq_f32_e64 s[2:3], s34, 0
	v_cmp_neq_f32_e64 s[10:11], s35, 0
	v_add3_u32 v4, v4, v6, v5
	s_or_b64 s[2:3], s[2:3], s[10:11]
	v_lshlrev_b64 v[4:5], 3, v[3:4]
	v_mov_b32_e32 v2, 0
	s_andn2_b64 vcc, exec, s[2:3]
	v_mov_b32_e32 v3, 0
	s_cbranch_vccnz .LBB1_8
; %bb.7:
	v_mov_b32_e32 v3, s40
	v_add_co_u32_e32 v2, vcc, s33, v4
	v_addc_co_u32_e32 v3, vcc, v3, v5, vcc
	global_load_dwordx2 v[6:7], v[2:3], off
	s_waitcnt vmcnt(0)
	v_mul_f32_e32 v2, s35, v7
	v_mul_f32_e32 v3, s34, v7
	v_fma_f32 v2, s34, v6, -v2
	v_fmac_f32_e32 v3, s35, v6
.LBB1_8:
	v_mov_b32_e32 v6, s40
	v_add_co_u32_e32 v4, vcc, s33, v4
	v_addc_co_u32_e32 v5, vcc, v6, v5, vcc
	global_store_dwordx2 v[4:5], v[2:3], off
.LBB1_9:
	s_or_b64 exec, exec, s[0:1]
	s_mov_b64 s[2:3], 0
.LBB1_10:
	s_andn2_b64 vcc, exec, s[2:3]
	s_cbranch_vccnz .LBB1_24
; %bb.11:
	v_lshrrev_b32_e32 v12, 6, v9
	v_cmp_gt_i32_e32 vcc, s37, v12
	v_mov_b32_e32 v3, 0
	v_mov_b32_e32 v2, 0
	s_and_saveexec_b64 s[10:11], vcc
	s_cbranch_execz .LBB1_19
; %bb.12:
	s_load_dwordx8 s[24:31], s[4:5], 0x10
	s_load_dwordx8 s[16:23], s[4:5], 0x30
	v_lshrrev_b32_e32 v4, 6, v9
	v_add_u32_e32 v13, s8, v11
	s_waitcnt lgkmcnt(0)
	s_mul_i32 s1, s29, s7
	s_mul_hi_u32 s2, s28, s7
	s_mul_i32 s0, s28, s7
	s_add_i32 s1, s2, s1
	s_lshl_b64 s[0:1], s[0:1], 3
	s_add_u32 s2, s24, s0
	s_addc_u32 s4, s25, s1
	s_lshl_b64 s[0:1], s[26:27], 3
	s_add_u32 s22, s2, s0
	v_mad_u64_u32 v[2:3], s[2:3], s18, v4, 0
	s_addc_u32 s23, s4, s1
	s_bitcmp1_b32 s36, 0
	s_cselect_b64 vcc, -1, 0
	s_lshl_b32 s2, s37, 1
	s_or_b32 s24, s2, 1
	s_mul_i32 s2, s21, s7
	s_mul_hi_u32 s3, s20, s7
	v_mad_u64_u32 v[3:4], s[0:1], s19, v4, v[3:4]
	s_add_i32 s3, s3, s2
	s_mul_i32 s2, s20, s7
	s_lshl_b64 s[2:3], s[2:3], 3
	s_lshl_b64 s[4:5], s[16:17], 3
	s_add_u32 s4, s30, s4
	s_addc_u32 s5, s31, s5
	v_lshlrev_b64 v[2:3], 3, v[2:3]
	s_add_u32 s2, s4, s2
	s_addc_u32 s3, s5, s3
	v_mov_b32_e32 v4, s3
	v_add_co_u32_e64 v2, s[2:3], s2, v2
	v_addc_co_u32_e64 v3, s[2:3], v4, v3, s[2:3]
	v_add_co_u32_e64 v4, s[2:3], 4, v2
	v_addc_co_u32_e64 v5, s[2:3], 0, v3, s[2:3]
	s_lshl_b64 s[14:15], s[18:19], 7
	v_mov_b32_e32 v3, 0
	v_cmp_gt_i32_e64 s[0:1], s37, v10
	s_mov_b64 s[16:17], 0
	s_xor_b64 s[18:19], vcc, -1
	v_mov_b32_e32 v14, s15
	v_mov_b32_e32 v2, v3
	s_branch .LBB1_15
.LBB1_13:                               ;   in Loop: Header=BB1_15 Depth=1
	s_or_b64 exec, exec, s[8:9]
	global_load_dwordx2 v[16:17], v[4:5], off offset:-4
	global_load_dword v18, v[6:7], off
	s_waitcnt vmcnt(1)
	v_mul_f32_e32 v6, v15, v17
	s_waitcnt vmcnt(0)
	v_mul_f32_e32 v7, v18, v17
	v_fma_f32 v6, v18, v16, -v6
	v_fmac_f32_e32 v7, v15, v16
	v_add_f32_e32 v2, v2, v6
	v_add_f32_e32 v3, v3, v7
.LBB1_14:                               ;   in Loop: Header=BB1_15 Depth=1
	s_or_b64 exec, exec, s[20:21]
	v_add_u32_e32 v12, 16, v12
	v_cmp_le_i32_e64 s[2:3], s37, v12
	s_or_b64 s[16:17], s[2:3], s[16:17]
	v_add_co_u32_e64 v4, s[2:3], s14, v4
	v_addc_co_u32_e64 v5, s[2:3], v5, v14, s[2:3]
	s_andn2_b64 exec, exec, s[16:17]
	s_cbranch_execz .LBB1_18
.LBB1_15:                               ; =>This Inner Loop Header: Depth=1
	s_and_saveexec_b64 s[20:21], s[0:1]
	s_cbranch_execz .LBB1_14
; %bb.16:                               ;   in Loop: Header=BB1_15 Depth=1
	v_cmp_le_i32_e64 s[2:3], v10, v12
	s_or_b64 s[4:5], s[18:19], s[2:3]
	v_cmp_ge_i32_e64 s[2:3], v10, v12
	s_or_b64 s[2:3], vcc, s[2:3]
	s_and_b64 s[2:3], s[4:5], s[2:3]
	v_cndmask_b32_e64 v16, v10, v12, s[2:3]
	v_sub_u32_e32 v6, s24, v16
	v_add_u32_e32 v7, 1, v16
	v_cndmask_b32_e32 v6, v6, v7, vcc
	v_mad_i64_i32 v[6:7], s[4:5], v6, v16, 0
	v_cndmask_b32_e64 v15, v12, v10, s[2:3]
	v_cndmask_b32_e64 v16, v16, 0, vcc
	v_sub_u32_e32 v15, v15, v16
	v_lshrrev_b32_e32 v16, 31, v7
	v_add_co_u32_e64 v6, s[4:5], v6, v16
	v_addc_co_u32_e64 v7, s[4:5], 0, v7, s[4:5]
	v_lshlrev_b64 v[6:7], 2, v[6:7]
	v_ashrrev_i32_e32 v16, 31, v15
	v_and_b32_e32 v6, -8, v6
	v_mov_b32_e32 v17, s23
	v_add_co_u32_e64 v18, s[8:9], s22, v6
	v_addc_co_u32_e64 v17, s[8:9], v17, v7, s[8:9]
	v_lshlrev_b64 v[6:7], 3, v[15:16]
	v_cmp_ne_u32_e64 s[4:5], v13, v12
	v_add_co_u32_e64 v6, s[8:9], v18, v6
	v_addc_co_u32_e64 v7, s[8:9], v17, v7, s[8:9]
	v_mov_b32_e32 v15, 0
	s_and_saveexec_b64 s[8:9], s[4:5]
	s_cbranch_execz .LBB1_13
; %bb.17:                               ;   in Loop: Header=BB1_15 Depth=1
	global_load_dword v15, v[6:7], off offset:4
	s_waitcnt vmcnt(0)
	v_cndmask_b32_e64 v15, -v15, v15, s[2:3]
	s_branch .LBB1_13
.LBB1_18:
	s_or_b64 exec, exec, s[16:17]
.LBB1_19:
	s_or_b64 exec, exec, s[10:11]
	s_mov_b32 s0, 0x1ffc0
	v_and_or_b32 v4, v9, s0, v11
	v_cmp_gt_u32_e32 vcc, 64, v9
	v_cmp_gt_i32_e64 s[0:1], s37, v10
	v_lshlrev_b32_e32 v4, 3, v4
	s_and_b64 s[0:1], vcc, s[0:1]
	ds_write_b64 v4, v[2:3]
	s_waitcnt vmcnt(0) lgkmcnt(0)
	s_barrier
	s_and_saveexec_b64 s[2:3], s[0:1]
	s_cbranch_execz .LBB1_24
; %bb.20:
	v_lshlrev_b32_e32 v2, 3, v0
	v_lshl_add_u32 v12, v8, 3, v2
	ds_read_b64 v[10:11], v12
	v_lshl_add_u32 v13, v1, 9, v2
	ds_read2st64_b64 v[2:5], v13 offset0:1 offset1:2
	ds_read2st64_b64 v[6:9], v13 offset0:3 offset1:4
	v_add_u32_e32 v1, s6, v1
	v_lshl_or_b32 v0, v1, 6, v0
	v_mov_b32_e32 v1, 0
	s_waitcnt lgkmcnt(1)
	v_add_f32_e32 v2, v10, v2
	v_add_f32_e32 v3, v11, v3
	;; [unrolled: 1-line block ×4, first 2 shown]
	s_waitcnt lgkmcnt(0)
	v_add_f32_e32 v6, v2, v6
	ds_read2st64_b64 v[2:5], v13 offset0:5 offset1:6
	v_add_f32_e32 v7, v10, v7
	v_add_f32_e32 v10, v6, v8
	;; [unrolled: 1-line block ×3, first 2 shown]
	ds_read2st64_b64 v[6:9], v13 offset0:7 offset1:8
	s_waitcnt lgkmcnt(1)
	v_add_f32_e32 v2, v10, v2
	v_add_f32_e32 v3, v11, v3
	v_add_f32_e32 v2, v2, v4
	v_add_f32_e32 v10, v3, v5
	s_waitcnt lgkmcnt(0)
	v_add_f32_e32 v6, v2, v6
	ds_read2st64_b64 v[2:5], v13 offset0:9 offset1:10
	v_add_f32_e32 v7, v10, v7
	v_add_f32_e32 v10, v6, v8
	;; [unrolled: 1-line block ×3, first 2 shown]
	ds_read2st64_b64 v[6:9], v13 offset0:11 offset1:12
	s_waitcnt lgkmcnt(1)
	v_add_f32_e32 v2, v10, v2
	v_add_f32_e32 v3, v11, v3
	ds_write_b64 v12, v[2:3]
	v_add_f32_e32 v2, v2, v4
	v_add_f32_e32 v3, v3, v5
	ds_write_b64 v12, v[2:3]
	s_waitcnt lgkmcnt(2)
	v_add_f32_e32 v6, v2, v6
	v_add_f32_e32 v7, v3, v7
	ds_read2st64_b64 v[2:5], v13 offset0:13 offset1:14
	ds_write_b64 v12, v[6:7]
	v_add_f32_e32 v6, v6, v8
	v_add_f32_e32 v7, v7, v9
	ds_read_b64 v[8:9], v13 offset:7680
	s_waitcnt lgkmcnt(2)
	v_add_f32_e32 v2, v6, v2
	v_add_f32_e32 v3, v7, v3
	s_ashr_i32 s1, s37, 31
	s_mov_b32 s0, s37
	ds_write_b64 v12, v[6:7]
	ds_write_b64 v12, v[2:3]
	v_add_f32_e32 v2, v2, v4
	v_add_f32_e32 v3, v3, v5
	v_cmp_gt_i64_e32 vcc, s[0:1], v[0:1]
	ds_write_b64 v12, v[2:3]
	s_waitcnt lgkmcnt(3)
	v_add_f32_e32 v2, v2, v8
	v_add_f32_e32 v3, v3, v9
	ds_write_b64 v12, v[2:3]
	s_and_b64 exec, exec, vcc
	s_cbranch_execz .LBB1_24
; %bb.21:
	v_mad_u64_u32 v[4:5], s[0:1], s12, v0, 0
	v_cmp_neq_f32_e64 s[0:1], s34, 0
	v_cmp_neq_f32_e64 s[2:3], s35, 0
	v_mov_b32_e32 v1, v5
	v_mad_u64_u32 v[5:6], s[4:5], s13, v0, v[1:2]
	v_mul_f32_e32 v0, s39, v3
	v_mul_f32_e32 v1, s38, v3
	s_or_b64 s[0:1], s[0:1], s[2:3]
	v_lshlrev_b64 v[3:4], 3, v[4:5]
	v_fma_f32 v0, v2, s38, -v0
	s_andn2_b64 vcc, exec, s[0:1]
	v_fmac_f32_e32 v1, s39, v2
	s_cbranch_vccnz .LBB1_23
; %bb.22:
	v_mov_b32_e32 v2, s40
	v_add_co_u32_e32 v5, vcc, s33, v3
	v_addc_co_u32_e32 v6, vcc, v2, v4, vcc
	global_load_dwordx2 v[5:6], v[5:6], off
	s_waitcnt vmcnt(0)
	v_mul_f32_e32 v2, s35, v6
	v_mul_f32_e32 v6, s34, v6
	v_fma_f32 v2, s34, v5, -v2
	v_fmac_f32_e32 v6, s35, v5
	v_add_f32_e32 v0, v0, v2
	v_add_f32_e32 v1, v1, v6
.LBB1_23:
	v_mov_b32_e32 v5, s40
	v_add_co_u32_e32 v2, vcc, s33, v3
	v_addc_co_u32_e32 v3, vcc, v5, v4, vcc
	global_store_dwordx2 v[2:3], v[0:1], off
.LBB1_24:
	s_endpgm
	.section	.rodata,"a",@progbits
	.p2align	6, 0x0
	.amdhsa_kernel _ZL19rocblas_hpmv_kernelILi64ELi16E19rocblas_complex_numIfEPKS1_PS1_EvbiT1_T2_llS6_lllS5_T3_llli
		.amdhsa_group_segment_fixed_size 8192
		.amdhsa_private_segment_fixed_size 0
		.amdhsa_kernarg_size 116
		.amdhsa_user_sgpr_count 6
		.amdhsa_user_sgpr_private_segment_buffer 1
		.amdhsa_user_sgpr_dispatch_ptr 0
		.amdhsa_user_sgpr_queue_ptr 0
		.amdhsa_user_sgpr_kernarg_segment_ptr 1
		.amdhsa_user_sgpr_dispatch_id 0
		.amdhsa_user_sgpr_flat_scratch_init 0
		.amdhsa_user_sgpr_private_segment_size 0
		.amdhsa_uses_dynamic_stack 0
		.amdhsa_system_sgpr_private_segment_wavefront_offset 0
		.amdhsa_system_sgpr_workgroup_id_x 1
		.amdhsa_system_sgpr_workgroup_id_y 0
		.amdhsa_system_sgpr_workgroup_id_z 1
		.amdhsa_system_sgpr_workgroup_info 0
		.amdhsa_system_vgpr_workitem_id 1
		.amdhsa_next_free_vgpr 29
		.amdhsa_next_free_sgpr 61
		.amdhsa_reserve_vcc 1
		.amdhsa_reserve_flat_scratch 0
		.amdhsa_float_round_mode_32 0
		.amdhsa_float_round_mode_16_64 0
		.amdhsa_float_denorm_mode_32 3
		.amdhsa_float_denorm_mode_16_64 3
		.amdhsa_dx10_clamp 1
		.amdhsa_ieee_mode 1
		.amdhsa_fp16_overflow 0
		.amdhsa_exception_fp_ieee_invalid_op 0
		.amdhsa_exception_fp_denorm_src 0
		.amdhsa_exception_fp_ieee_div_zero 0
		.amdhsa_exception_fp_ieee_overflow 0
		.amdhsa_exception_fp_ieee_underflow 0
		.amdhsa_exception_fp_ieee_inexact 0
		.amdhsa_exception_int_div_zero 0
	.end_amdhsa_kernel
	.section	.text._ZL19rocblas_hpmv_kernelILi64ELi16E19rocblas_complex_numIfEPKS1_PS1_EvbiT1_T2_llS6_lllS5_T3_llli,"axG",@progbits,_ZL19rocblas_hpmv_kernelILi64ELi16E19rocblas_complex_numIfEPKS1_PS1_EvbiT1_T2_llS6_lllS5_T3_llli,comdat
.Lfunc_end1:
	.size	_ZL19rocblas_hpmv_kernelILi64ELi16E19rocblas_complex_numIfEPKS1_PS1_EvbiT1_T2_llS6_lllS5_T3_llli, .Lfunc_end1-_ZL19rocblas_hpmv_kernelILi64ELi16E19rocblas_complex_numIfEPKS1_PS1_EvbiT1_T2_llS6_lllS5_T3_llli
                                        ; -- End function
	.set _ZL19rocblas_hpmv_kernelILi64ELi16E19rocblas_complex_numIfEPKS1_PS1_EvbiT1_T2_llS6_lllS5_T3_llli.num_vgpr, 19
	.set _ZL19rocblas_hpmv_kernelILi64ELi16E19rocblas_complex_numIfEPKS1_PS1_EvbiT1_T2_llS6_lllS5_T3_llli.num_agpr, 0
	.set _ZL19rocblas_hpmv_kernelILi64ELi16E19rocblas_complex_numIfEPKS1_PS1_EvbiT1_T2_llS6_lllS5_T3_llli.numbered_sgpr, 41
	.set _ZL19rocblas_hpmv_kernelILi64ELi16E19rocblas_complex_numIfEPKS1_PS1_EvbiT1_T2_llS6_lllS5_T3_llli.num_named_barrier, 0
	.set _ZL19rocblas_hpmv_kernelILi64ELi16E19rocblas_complex_numIfEPKS1_PS1_EvbiT1_T2_llS6_lllS5_T3_llli.private_seg_size, 0
	.set _ZL19rocblas_hpmv_kernelILi64ELi16E19rocblas_complex_numIfEPKS1_PS1_EvbiT1_T2_llS6_lllS5_T3_llli.uses_vcc, 1
	.set _ZL19rocblas_hpmv_kernelILi64ELi16E19rocblas_complex_numIfEPKS1_PS1_EvbiT1_T2_llS6_lllS5_T3_llli.uses_flat_scratch, 0
	.set _ZL19rocblas_hpmv_kernelILi64ELi16E19rocblas_complex_numIfEPKS1_PS1_EvbiT1_T2_llS6_lllS5_T3_llli.has_dyn_sized_stack, 0
	.set _ZL19rocblas_hpmv_kernelILi64ELi16E19rocblas_complex_numIfEPKS1_PS1_EvbiT1_T2_llS6_lllS5_T3_llli.has_recursion, 0
	.set _ZL19rocblas_hpmv_kernelILi64ELi16E19rocblas_complex_numIfEPKS1_PS1_EvbiT1_T2_llS6_lllS5_T3_llli.has_indirect_call, 0
	.section	.AMDGPU.csdata,"",@progbits
; Kernel info:
; codeLenInByte = 1488
; TotalNumSgprs: 45
; NumVgprs: 19
; ScratchSize: 0
; MemoryBound: 0
; FloatMode: 240
; IeeeMode: 1
; LDSByteSize: 8192 bytes/workgroup (compile time only)
; SGPRBlocks: 8
; VGPRBlocks: 7
; NumSGPRsForWavesPerEU: 65
; NumVGPRsForWavesPerEU: 29
; Occupancy: 8
; WaveLimiterHint : 1
; COMPUTE_PGM_RSRC2:SCRATCH_EN: 0
; COMPUTE_PGM_RSRC2:USER_SGPR: 6
; COMPUTE_PGM_RSRC2:TRAP_HANDLER: 0
; COMPUTE_PGM_RSRC2:TGID_X_EN: 1
; COMPUTE_PGM_RSRC2:TGID_Y_EN: 0
; COMPUTE_PGM_RSRC2:TGID_Z_EN: 1
; COMPUTE_PGM_RSRC2:TIDIG_COMP_CNT: 1
	.section	.text._ZL19rocblas_hpmv_kernelILi64ELi16EPK19rocblas_complex_numIdES3_PS1_EvbiT1_T2_llS6_lllS5_T3_llli,"axG",@progbits,_ZL19rocblas_hpmv_kernelILi64ELi16EPK19rocblas_complex_numIdES3_PS1_EvbiT1_T2_llS6_lllS5_T3_llli,comdat
	.globl	_ZL19rocblas_hpmv_kernelILi64ELi16EPK19rocblas_complex_numIdES3_PS1_EvbiT1_T2_llS6_lllS5_T3_llli ; -- Begin function _ZL19rocblas_hpmv_kernelILi64ELi16EPK19rocblas_complex_numIdES3_PS1_EvbiT1_T2_llS6_lllS5_T3_llli
	.p2align	8
	.type	_ZL19rocblas_hpmv_kernelILi64ELi16EPK19rocblas_complex_numIdES3_PS1_EvbiT1_T2_llS6_lllS5_T3_llli,@function
_ZL19rocblas_hpmv_kernelILi64ELi16EPK19rocblas_complex_numIdES3_PS1_EvbiT1_T2_llS6_lllS5_T3_llli: ; @_ZL19rocblas_hpmv_kernelILi64ELi16EPK19rocblas_complex_numIdES3_PS1_EvbiT1_T2_llS6_lllS5_T3_llli
; %bb.0:
	s_load_dwordx16 s[8:23], s[4:5], 0x8
	s_load_dwordx8 s[24:31], s[4:5], 0x48
	s_waitcnt lgkmcnt(0)
	s_load_dwordx4 s[40:43], s[8:9], 0x0
	s_load_dwordx4 s[36:39], s[24:25], 0x0
	s_waitcnt lgkmcnt(0)
	v_cmp_neq_f64_e64 s[0:1], s[40:41], 0
	v_cmp_neq_f64_e64 s[2:3], s[42:43], 0
	s_or_b64 s[0:1], s[0:1], s[2:3]
	s_mov_b64 s[2:3], -1
	s_and_b64 vcc, exec, s[0:1]
	s_cbranch_vccnz .LBB2_2
; %bb.1:
	v_cmp_neq_f64_e64 s[2:3], s[36:37], 1.0
	v_cmp_neq_f64_e64 s[8:9], s[38:39], 0
	s_or_b64 s[2:3], s[2:3], s[8:9]
.LBB2_2:
	s_andn2_b64 vcc, exec, s[2:3]
	s_cbranch_vccnz .LBB2_29
; %bb.3:
	s_load_dwordx2 s[2:3], s[4:5], 0x68
	s_load_dwordx2 s[34:35], s[4:5], 0x0
	s_xor_b64 s[0:1], s[0:1], -1
	v_lshlrev_b32_e32 v12, 6, v1
	v_and_b32_e32 v15, 63, v0
	s_waitcnt lgkmcnt(0)
	s_mul_i32 s3, s3, s7
	s_mul_hi_u32 s4, s2, s7
	s_mul_i32 s2, s2, s7
	s_add_i32 s3, s4, s3
	s_lshl_b64 s[2:3], s[2:3], 4
	s_add_u32 s4, s26, s2
	s_addc_u32 s5, s27, s3
	s_lshl_b64 s[2:3], s[28:29], 4
	s_add_u32 s28, s4, s2
	s_addc_u32 s29, s5, s3
	s_lshl_b32 s33, s6, 6
	v_add_u32_e32 v13, v12, v0
	v_or_b32_e32 v14, s33, v15
	s_andn2_b64 vcc, exec, s[0:1]
	v_cmp_gt_i32_e64 s[0:1], s35, v14
	v_cmp_gt_u32_e64 s[2:3], 64, v13
	s_cbranch_vccnz .LBB2_10
; %bb.4:
	s_and_b64 s[4:5], s[2:3], s[0:1]
	s_mov_b64 s[0:1], 0
	s_mov_b64 s[24:25], 0
                                        ; implicit-def: $vgpr4_vgpr5
                                        ; implicit-def: $vgpr10_vgpr11
	s_and_saveexec_b64 s[2:3], s[4:5]
	s_cbranch_execz .LBB2_11
; %bb.5:
	v_add_u32_e32 v2, s6, v1
	v_lshl_or_b32 v2, v2, 6, v0
	v_cmp_gt_i32_e32 vcc, s35, v2
	s_mov_b64 s[8:9], 0
                                        ; implicit-def: $vgpr4_vgpr5
                                        ; implicit-def: $vgpr10_vgpr11
	s_and_saveexec_b64 s[4:5], vcc
	s_cbranch_execz .LBB2_9
; %bb.6:
	v_cmp_neq_f64_e64 s[8:9], s[36:37], 0
	v_cmp_neq_f64_e64 s[24:25], s[38:39], 0
	v_ashrrev_i32_e32 v3, 31, v2
	v_mul_lo_u32 v6, s31, v2
	v_mad_u64_u32 v[10:11], s[26:27], s30, v2, 0
	v_mul_lo_u32 v7, s30, v3
	v_mov_b32_e32 v4, 0
	v_mov_b32_e32 v2, 0
	s_or_b64 s[8:9], s[8:9], s[24:25]
	v_mov_b32_e32 v5, 0
	s_andn2_b64 vcc, exec, s[8:9]
	v_mov_b32_e32 v3, 0
	v_add3_u32 v11, v11, v7, v6
	s_cbranch_vccnz .LBB2_8
; %bb.7:
	v_lshlrev_b64 v[2:3], 4, v[10:11]
	v_mov_b32_e32 v4, s29
	v_add_co_u32_e32 v2, vcc, s28, v2
	v_addc_co_u32_e32 v3, vcc, v4, v3, vcc
	global_load_dwordx4 v[4:7], v[2:3], off
	s_waitcnt vmcnt(0)
	v_mul_f64 v[2:3], s[38:39], v[6:7]
	v_mul_f64 v[6:7], s[36:37], v[6:7]
	v_fma_f64 v[2:3], s[36:37], v[4:5], -v[2:3]
	v_fma_f64 v[4:5], s[38:39], v[4:5], v[6:7]
.LBB2_8:
	s_mov_b64 s[8:9], exec
.LBB2_9:
	s_or_b64 exec, exec, s[4:5]
	s_and_b64 s[24:25], s[8:9], exec
	s_or_b64 exec, exec, s[2:3]
	s_and_b64 vcc, exec, s[0:1]
	s_cbranch_vccnz .LBB2_12
	s_branch .LBB2_27
.LBB2_10:
	s_mov_b64 s[24:25], 0
                                        ; implicit-def: $vgpr4_vgpr5
                                        ; implicit-def: $vgpr10_vgpr11
	s_cbranch_execnz .LBB2_12
	s_branch .LBB2_27
.LBB2_11:
	s_or_b64 exec, exec, s[2:3]
	s_and_b64 vcc, exec, s[0:1]
	s_cbranch_vccz .LBB2_27
.LBB2_12:
	v_lshrrev_b32_e32 v16, 6, v13
	v_mov_b32_e32 v4, 0
	v_mov_b32_e32 v2, 0
	;; [unrolled: 1-line block ×4, first 2 shown]
	v_cmp_gt_i32_e32 vcc, s35, v16
	s_and_saveexec_b64 s[26:27], vcc
	s_cbranch_execz .LBB2_20
; %bb.13:
	s_mul_i32 s0, s15, s7
	s_mul_hi_u32 s1, s14, s7
	s_add_i32 s1, s1, s0
	s_mul_i32 s0, s14, s7
	s_lshl_b64 s[0:1], s[0:1], 4
	s_add_u32 s2, s10, s0
	s_addc_u32 s4, s11, s1
	s_lshl_b64 s[0:1], s[12:13], 4
	s_add_u32 s44, s2, s0
	v_lshrrev_b32_e32 v4, 6, v13
	v_mad_u64_u32 v[2:3], s[2:3], s20, v4, 0
	s_addc_u32 s45, s4, s1
	s_bitcmp1_b32 s34, 0
	s_cselect_b64 vcc, -1, 0
	s_lshl_b32 s2, s35, 1
	s_or_b32 s34, s2, 1
	s_mul_i32 s2, s23, s7
	s_mul_hi_u32 s3, s22, s7
	v_mad_u64_u32 v[3:4], s[0:1], s21, v4, v[3:4]
	s_add_i32 s3, s3, s2
	s_mul_i32 s2, s22, s7
	s_lshl_b64 s[2:3], s[2:3], 4
	s_lshl_b64 s[4:5], s[18:19], 4
	s_add_u32 s4, s16, s4
	s_addc_u32 s5, s17, s5
	v_lshlrev_b64 v[2:3], 4, v[2:3]
	s_add_u32 s2, s4, s2
	s_addc_u32 s3, s5, s3
	v_mov_b32_e32 v4, s3
	v_add_co_u32_e64 v2, s[2:3], s2, v2
	v_addc_co_u32_e64 v3, s[2:3], v4, v3, s[2:3]
	v_add_co_u32_e64 v6, s[2:3], 8, v2
	v_mov_b32_e32 v4, 0
	v_addc_co_u32_e64 v7, s[2:3], 0, v3, s[2:3]
	v_mov_b32_e32 v5, 0
	v_mov_b32_e32 v2, v4
	v_cmp_gt_i32_e64 s[0:1], s35, v14
	s_lshl_b64 s[10:11], s[20:21], 8
	v_add_u32_e32 v17, s33, v15
	s_mov_b64 s[12:13], 0
	s_xor_b64 s[14:15], vcc, -1
	v_mov_b32_e32 v3, v5
	s_branch .LBB2_16
.LBB2_14:                               ;   in Loop: Header=BB2_16 Depth=1
	s_or_b64 exec, exec, s[8:9]
	global_load_dwordx4 v[18:21], v[6:7], off offset:-8
	global_load_dwordx2 v[22:23], v[10:11], off
	s_waitcnt vmcnt(1)
	v_mul_f64 v[10:11], v[8:9], v[20:21]
	s_waitcnt vmcnt(0)
	v_mul_f64 v[20:21], v[22:23], v[20:21]
	v_fma_f64 v[10:11], v[22:23], v[18:19], -v[10:11]
	v_fma_f64 v[8:9], v[8:9], v[18:19], v[20:21]
	v_add_f64 v[2:3], v[2:3], v[10:11]
	v_add_f64 v[4:5], v[4:5], v[8:9]
.LBB2_15:                               ;   in Loop: Header=BB2_16 Depth=1
	s_or_b64 exec, exec, s[16:17]
	v_add_u32_e32 v16, 16, v16
	v_cmp_le_i32_e64 s[2:3], s35, v16
	v_mov_b32_e32 v8, s11
	s_or_b64 s[12:13], s[2:3], s[12:13]
	v_add_co_u32_e64 v6, s[2:3], s10, v6
	v_addc_co_u32_e64 v7, s[2:3], v7, v8, s[2:3]
	s_andn2_b64 exec, exec, s[12:13]
	s_cbranch_execz .LBB2_19
.LBB2_16:                               ; =>This Inner Loop Header: Depth=1
	s_and_saveexec_b64 s[16:17], s[0:1]
	s_cbranch_execz .LBB2_15
; %bb.17:                               ;   in Loop: Header=BB2_16 Depth=1
	v_cmp_le_i32_e64 s[2:3], v14, v16
	s_or_b64 s[4:5], s[14:15], s[2:3]
	v_cmp_ge_i32_e64 s[2:3], v14, v16
	s_or_b64 s[2:3], vcc, s[2:3]
	s_and_b64 s[2:3], s[4:5], s[2:3]
	v_cndmask_b32_e64 v11, v14, v16, s[2:3]
	v_sub_u32_e32 v8, s34, v11
	v_add_u32_e32 v9, 1, v11
	v_cndmask_b32_e32 v8, v8, v9, vcc
	v_mad_i64_i32 v[8:9], s[4:5], v8, v11, 0
	v_cndmask_b32_e64 v10, v16, v14, s[2:3]
	v_cndmask_b32_e64 v11, v11, 0, vcc
	v_sub_u32_e32 v10, v10, v11
	v_lshrrev_b32_e32 v11, 31, v9
	v_add_co_u32_e64 v8, s[4:5], v8, v11
	v_addc_co_u32_e64 v9, s[4:5], 0, v9, s[4:5]
	v_lshlrev_b64 v[8:9], 3, v[8:9]
	v_ashrrev_i32_e32 v11, 31, v10
	v_and_b32_e32 v8, -16, v8
	v_mov_b32_e32 v18, s45
	v_add_co_u32_e64 v19, s[8:9], s44, v8
	v_lshlrev_b64 v[10:11], 4, v[10:11]
	v_addc_co_u32_e64 v18, s[8:9], v18, v9, s[8:9]
	v_mov_b32_e32 v8, 0
	v_add_co_u32_e64 v10, s[8:9], v19, v10
	v_cmp_ne_u32_e64 s[4:5], v17, v16
	v_mov_b32_e32 v9, 0
	v_addc_co_u32_e64 v11, s[8:9], v18, v11, s[8:9]
	s_and_saveexec_b64 s[8:9], s[4:5]
	s_cbranch_execz .LBB2_14
; %bb.18:                               ;   in Loop: Header=BB2_16 Depth=1
	global_load_dwordx2 v[8:9], v[10:11], off offset:8
	s_waitcnt vmcnt(0)
	v_xor_b32_e32 v18, 0x80000000, v9
	v_cndmask_b32_e64 v9, v18, v9, s[2:3]
	s_branch .LBB2_14
.LBB2_19:
	s_or_b64 exec, exec, s[12:13]
.LBB2_20:
	s_or_b64 exec, exec, s[26:27]
	s_mov_b32 s0, 0x1ffc0
	v_and_or_b32 v6, v13, s0, v15
	v_cmp_gt_u32_e32 vcc, 64, v13
	v_cmp_gt_i32_e64 s[0:1], s35, v14
	v_lshlrev_b32_e32 v6, 4, v6
	s_and_b64 s[2:3], vcc, s[0:1]
	ds_write_b128 v6, v[2:5]
	s_waitcnt lgkmcnt(0)
	s_barrier
                                        ; implicit-def: $vgpr4_vgpr5
                                        ; implicit-def: $vgpr10_vgpr11
	s_and_saveexec_b64 s[0:1], s[2:3]
	s_cbranch_execz .LBB2_26
; %bb.21:
	v_lshlrev_b32_e32 v3, 4, v0
	v_lshl_add_u32 v2, v12, 4, v3
	v_lshl_add_u32 v3, v1, 10, v3
	ds_read_b128 v[4:7], v2
	ds_read_b128 v[8:11], v3 offset:1024
	v_add_u32_e32 v1, s6, v1
	v_lshl_or_b32 v0, v1, 6, v0
	ds_read_b128 v[12:15], v3 offset:15360
	v_mov_b32_e32 v1, 0
	s_waitcnt lgkmcnt(1)
	v_add_f64 v[8:9], v[4:5], v[8:9]
	v_add_f64 v[10:11], v[6:7], v[10:11]
	ds_read_b128 v[4:7], v3 offset:2048
	s_ashr_i32 s3, s35, 31
	s_mov_b32 s2, s35
	v_cmp_gt_i64_e32 vcc, s[2:3], v[0:1]
	s_mov_b64 s[4:5], s[24:25]
	s_waitcnt lgkmcnt(0)
	v_add_f64 v[8:9], v[8:9], v[4:5]
	v_add_f64 v[10:11], v[10:11], v[6:7]
	ds_read_b128 v[4:7], v3 offset:3072
	s_waitcnt lgkmcnt(0)
	v_add_f64 v[8:9], v[8:9], v[4:5]
	v_add_f64 v[10:11], v[10:11], v[6:7]
	ds_read_b128 v[4:7], v3 offset:4096
	;; [unrolled: 4-line block ×8, first 2 shown]
	ds_write_b128 v2, v[4:7]
	s_waitcnt lgkmcnt(1)
	v_add_f64 v[4:5], v[4:5], v[8:9]
	v_add_f64 v[6:7], v[6:7], v[10:11]
	ds_read_b128 v[8:11], v3 offset:11264
	ds_write_b128 v2, v[4:7]
	s_waitcnt lgkmcnt(1)
	v_add_f64 v[4:5], v[4:5], v[8:9]
	v_add_f64 v[6:7], v[6:7], v[10:11]
	ds_read_b128 v[8:11], v3 offset:12288
	ds_write_b128 v2, v[4:7]
	s_waitcnt lgkmcnt(1)
	v_add_f64 v[4:5], v[4:5], v[8:9]
	v_add_f64 v[6:7], v[6:7], v[10:11]
	ds_read_b128 v[8:11], v3 offset:13312
	ds_write_b128 v2, v[4:7]
	s_waitcnt lgkmcnt(1)
	v_add_f64 v[4:5], v[4:5], v[8:9]
	v_add_f64 v[6:7], v[6:7], v[10:11]
	ds_read_b128 v[8:11], v3 offset:14336
	s_waitcnt lgkmcnt(0)
	v_add_f64 v[8:9], v[4:5], v[8:9]
	v_add_f64 v[10:11], v[6:7], v[10:11]
	ds_write_b128 v2, v[4:7]
	v_add_f64 v[6:7], v[8:9], v[12:13]
	ds_write_b128 v2, v[8:11]
	v_add_f64 v[8:9], v[10:11], v[14:15]
                                        ; implicit-def: $vgpr10_vgpr11
	ds_write_b128 v2, v[6:9]
                                        ; implicit-def: $vgpr4_vgpr5
	s_and_saveexec_b64 s[2:3], vcc
	s_cbranch_execz .LBB2_25
; %bb.22:
	v_mul_f64 v[1:2], s[42:43], v[8:9]
	v_mul_f64 v[4:5], s[40:41], v[8:9]
	v_cmp_neq_f64_e64 s[4:5], s[36:37], 0
	v_cmp_neq_f64_e64 s[6:7], s[38:39], 0
	v_mad_u64_u32 v[10:11], s[8:9], s30, v0, 0
	v_fma_f64 v[2:3], s[40:41], v[6:7], -v[1:2]
	v_fma_f64 v[4:5], s[42:43], v[6:7], v[4:5]
	v_mov_b32_e32 v1, v11
	s_or_b64 s[4:5], s[4:5], s[6:7]
	s_andn2_b64 vcc, exec, s[4:5]
	v_mad_u64_u32 v[0:1], s[8:9], s31, v0, v[1:2]
	v_mov_b32_e32 v11, v0
	s_cbranch_vccnz .LBB2_24
; %bb.23:
	v_lshlrev_b64 v[0:1], 4, v[10:11]
	v_mov_b32_e32 v6, s29
	v_add_co_u32_e32 v0, vcc, s28, v0
	v_addc_co_u32_e32 v1, vcc, v6, v1, vcc
	global_load_dwordx4 v[6:9], v[0:1], off
	s_waitcnt vmcnt(0)
	v_mul_f64 v[0:1], s[38:39], v[8:9]
	v_mul_f64 v[8:9], s[36:37], v[8:9]
	v_fma_f64 v[0:1], s[36:37], v[6:7], -v[0:1]
	v_fma_f64 v[6:7], s[38:39], v[6:7], v[8:9]
	v_add_f64 v[2:3], v[2:3], v[0:1]
	v_add_f64 v[4:5], v[4:5], v[6:7]
.LBB2_24:
	s_or_b64 s[4:5], s[24:25], exec
.LBB2_25:
	s_or_b64 exec, exec, s[2:3]
	s_andn2_b64 s[2:3], s[24:25], exec
	s_and_b64 s[4:5], s[4:5], exec
	s_or_b64 s[24:25], s[2:3], s[4:5]
.LBB2_26:
	s_or_b64 exec, exec, s[0:1]
.LBB2_27:
	s_and_saveexec_b64 s[0:1], s[24:25]
	s_cbranch_execz .LBB2_29
; %bb.28:
	v_lshlrev_b64 v[0:1], 4, v[10:11]
	v_mov_b32_e32 v6, s29
	v_add_co_u32_e32 v0, vcc, s28, v0
	v_addc_co_u32_e32 v1, vcc, v6, v1, vcc
	global_store_dwordx4 v[0:1], v[2:5], off
.LBB2_29:
	s_endpgm
	.section	.rodata,"a",@progbits
	.p2align	6, 0x0
	.amdhsa_kernel _ZL19rocblas_hpmv_kernelILi64ELi16EPK19rocblas_complex_numIdES3_PS1_EvbiT1_T2_llS6_lllS5_T3_llli
		.amdhsa_group_segment_fixed_size 16384
		.amdhsa_private_segment_fixed_size 0
		.amdhsa_kernarg_size 116
		.amdhsa_user_sgpr_count 6
		.amdhsa_user_sgpr_private_segment_buffer 1
		.amdhsa_user_sgpr_dispatch_ptr 0
		.amdhsa_user_sgpr_queue_ptr 0
		.amdhsa_user_sgpr_kernarg_segment_ptr 1
		.amdhsa_user_sgpr_dispatch_id 0
		.amdhsa_user_sgpr_flat_scratch_init 0
		.amdhsa_user_sgpr_private_segment_size 0
		.amdhsa_uses_dynamic_stack 0
		.amdhsa_system_sgpr_private_segment_wavefront_offset 0
		.amdhsa_system_sgpr_workgroup_id_x 1
		.amdhsa_system_sgpr_workgroup_id_y 0
		.amdhsa_system_sgpr_workgroup_id_z 1
		.amdhsa_system_sgpr_workgroup_info 0
		.amdhsa_system_vgpr_workitem_id 1
		.amdhsa_next_free_vgpr 29
		.amdhsa_next_free_sgpr 61
		.amdhsa_reserve_vcc 1
		.amdhsa_reserve_flat_scratch 0
		.amdhsa_float_round_mode_32 0
		.amdhsa_float_round_mode_16_64 0
		.amdhsa_float_denorm_mode_32 3
		.amdhsa_float_denorm_mode_16_64 3
		.amdhsa_dx10_clamp 1
		.amdhsa_ieee_mode 1
		.amdhsa_fp16_overflow 0
		.amdhsa_exception_fp_ieee_invalid_op 0
		.amdhsa_exception_fp_denorm_src 0
		.amdhsa_exception_fp_ieee_div_zero 0
		.amdhsa_exception_fp_ieee_overflow 0
		.amdhsa_exception_fp_ieee_underflow 0
		.amdhsa_exception_fp_ieee_inexact 0
		.amdhsa_exception_int_div_zero 0
	.end_amdhsa_kernel
	.section	.text._ZL19rocblas_hpmv_kernelILi64ELi16EPK19rocblas_complex_numIdES3_PS1_EvbiT1_T2_llS6_lllS5_T3_llli,"axG",@progbits,_ZL19rocblas_hpmv_kernelILi64ELi16EPK19rocblas_complex_numIdES3_PS1_EvbiT1_T2_llS6_lllS5_T3_llli,comdat
.Lfunc_end2:
	.size	_ZL19rocblas_hpmv_kernelILi64ELi16EPK19rocblas_complex_numIdES3_PS1_EvbiT1_T2_llS6_lllS5_T3_llli, .Lfunc_end2-_ZL19rocblas_hpmv_kernelILi64ELi16EPK19rocblas_complex_numIdES3_PS1_EvbiT1_T2_llS6_lllS5_T3_llli
                                        ; -- End function
	.set _ZL19rocblas_hpmv_kernelILi64ELi16EPK19rocblas_complex_numIdES3_PS1_EvbiT1_T2_llS6_lllS5_T3_llli.num_vgpr, 24
	.set _ZL19rocblas_hpmv_kernelILi64ELi16EPK19rocblas_complex_numIdES3_PS1_EvbiT1_T2_llS6_lllS5_T3_llli.num_agpr, 0
	.set _ZL19rocblas_hpmv_kernelILi64ELi16EPK19rocblas_complex_numIdES3_PS1_EvbiT1_T2_llS6_lllS5_T3_llli.numbered_sgpr, 46
	.set _ZL19rocblas_hpmv_kernelILi64ELi16EPK19rocblas_complex_numIdES3_PS1_EvbiT1_T2_llS6_lllS5_T3_llli.num_named_barrier, 0
	.set _ZL19rocblas_hpmv_kernelILi64ELi16EPK19rocblas_complex_numIdES3_PS1_EvbiT1_T2_llS6_lllS5_T3_llli.private_seg_size, 0
	.set _ZL19rocblas_hpmv_kernelILi64ELi16EPK19rocblas_complex_numIdES3_PS1_EvbiT1_T2_llS6_lllS5_T3_llli.uses_vcc, 1
	.set _ZL19rocblas_hpmv_kernelILi64ELi16EPK19rocblas_complex_numIdES3_PS1_EvbiT1_T2_llS6_lllS5_T3_llli.uses_flat_scratch, 0
	.set _ZL19rocblas_hpmv_kernelILi64ELi16EPK19rocblas_complex_numIdES3_PS1_EvbiT1_T2_llS6_lllS5_T3_llli.has_dyn_sized_stack, 0
	.set _ZL19rocblas_hpmv_kernelILi64ELi16EPK19rocblas_complex_numIdES3_PS1_EvbiT1_T2_llS6_lllS5_T3_llli.has_recursion, 0
	.set _ZL19rocblas_hpmv_kernelILi64ELi16EPK19rocblas_complex_numIdES3_PS1_EvbiT1_T2_llS6_lllS5_T3_llli.has_indirect_call, 0
	.section	.AMDGPU.csdata,"",@progbits
; Kernel info:
; codeLenInByte = 1868
; TotalNumSgprs: 50
; NumVgprs: 24
; ScratchSize: 0
; MemoryBound: 0
; FloatMode: 240
; IeeeMode: 1
; LDSByteSize: 16384 bytes/workgroup (compile time only)
; SGPRBlocks: 8
; VGPRBlocks: 7
; NumSGPRsForWavesPerEU: 65
; NumVGPRsForWavesPerEU: 29
; Occupancy: 8
; WaveLimiterHint : 0
; COMPUTE_PGM_RSRC2:SCRATCH_EN: 0
; COMPUTE_PGM_RSRC2:USER_SGPR: 6
; COMPUTE_PGM_RSRC2:TRAP_HANDLER: 0
; COMPUTE_PGM_RSRC2:TGID_X_EN: 1
; COMPUTE_PGM_RSRC2:TGID_Y_EN: 0
; COMPUTE_PGM_RSRC2:TGID_Z_EN: 1
; COMPUTE_PGM_RSRC2:TIDIG_COMP_CNT: 1
	.section	.text._ZL19rocblas_hpmv_kernelILi64ELi16E19rocblas_complex_numIdEPKS1_PS1_EvbiT1_T2_llS6_lllS5_T3_llli,"axG",@progbits,_ZL19rocblas_hpmv_kernelILi64ELi16E19rocblas_complex_numIdEPKS1_PS1_EvbiT1_T2_llS6_lllS5_T3_llli,comdat
	.globl	_ZL19rocblas_hpmv_kernelILi64ELi16E19rocblas_complex_numIdEPKS1_PS1_EvbiT1_T2_llS6_lllS5_T3_llli ; -- Begin function _ZL19rocblas_hpmv_kernelILi64ELi16E19rocblas_complex_numIdEPKS1_PS1_EvbiT1_T2_llS6_lllS5_T3_llli
	.p2align	8
	.type	_ZL19rocblas_hpmv_kernelILi64ELi16E19rocblas_complex_numIdEPKS1_PS1_EvbiT1_T2_llS6_lllS5_T3_llli,@function
_ZL19rocblas_hpmv_kernelILi64ELi16E19rocblas_complex_numIdEPKS1_PS1_EvbiT1_T2_llS6_lllS5_T3_llli: ; @_ZL19rocblas_hpmv_kernelILi64ELi16E19rocblas_complex_numIdEPKS1_PS1_EvbiT1_T2_llS6_lllS5_T3_llli
; %bb.0:
	s_load_dwordx16 s[12:27], s[4:5], 0x8
	s_load_dwordx8 s[36:43], s[4:5], 0x48
	s_waitcnt lgkmcnt(0)
	v_cmp_neq_f64_e64 s[0:1], s[12:13], 0
	v_cmp_neq_f64_e64 s[2:3], s[14:15], 0
	s_or_b64 s[0:1], s[0:1], s[2:3]
	s_mov_b64 s[2:3], -1
	s_and_b64 vcc, exec, s[0:1]
	s_cbranch_vccnz .LBB3_2
; %bb.1:
	v_cmp_neq_f64_e64 s[2:3], s[38:39], 1.0
	v_cmp_neq_f64_e64 s[8:9], s[40:41], 0
	s_or_b64 s[2:3], s[2:3], s[8:9]
.LBB3_2:
	s_andn2_b64 vcc, exec, s[2:3]
	s_cbranch_vccnz .LBB3_29
; %bb.3:
	s_load_dwordx2 s[2:3], s[4:5], 0x78
	s_load_dwordx4 s[8:11], s[4:5], 0x68
	s_load_dwordx2 s[30:31], s[4:5], 0x0
	s_xor_b64 s[0:1], s[0:1], -1
	v_lshlrev_b32_e32 v12, 6, v1
	v_and_b32_e32 v15, 63, v0
	s_waitcnt lgkmcnt(0)
	s_mul_i32 s3, s3, s7
	s_mul_hi_u32 s4, s2, s7
	s_add_i32 s3, s4, s3
	s_mul_i32 s2, s2, s7
	s_lshl_b64 s[2:3], s[2:3], 4
	s_add_u32 s4, s42, s2
	s_addc_u32 s5, s43, s3
	s_lshl_b64 s[2:3], s[8:9], 4
	s_add_u32 s33, s4, s2
	s_addc_u32 s42, s5, s3
	s_lshl_b32 s43, s6, 6
	v_add_u32_e32 v13, v12, v0
	v_or_b32_e32 v14, s43, v15
	s_andn2_b64 vcc, exec, s[0:1]
	v_cmp_gt_i32_e64 s[0:1], s31, v14
	v_cmp_gt_u32_e64 s[2:3], 64, v13
	s_cbranch_vccnz .LBB3_10
; %bb.4:
	s_and_b64 s[4:5], s[2:3], s[0:1]
	s_mov_b64 s[0:1], 0
	s_mov_b64 s[28:29], 0
                                        ; implicit-def: $vgpr4_vgpr5
                                        ; implicit-def: $vgpr10_vgpr11
	s_and_saveexec_b64 s[2:3], s[4:5]
	s_cbranch_execz .LBB3_11
; %bb.5:
	v_add_u32_e32 v2, s6, v1
	v_lshl_or_b32 v2, v2, 6, v0
	v_cmp_gt_i32_e32 vcc, s31, v2
	s_mov_b64 s[8:9], 0
                                        ; implicit-def: $vgpr4_vgpr5
                                        ; implicit-def: $vgpr10_vgpr11
	s_and_saveexec_b64 s[4:5], vcc
	s_cbranch_execz .LBB3_9
; %bb.6:
	v_cmp_neq_f64_e64 s[8:9], s[38:39], 0
	v_cmp_neq_f64_e64 s[28:29], s[40:41], 0
	v_ashrrev_i32_e32 v3, 31, v2
	v_mul_lo_u32 v6, s11, v2
	v_mad_u64_u32 v[10:11], s[34:35], s10, v2, 0
	v_mul_lo_u32 v7, s10, v3
	v_mov_b32_e32 v4, 0
	v_mov_b32_e32 v2, 0
	s_or_b64 s[8:9], s[8:9], s[28:29]
	v_mov_b32_e32 v5, 0
	s_andn2_b64 vcc, exec, s[8:9]
	v_mov_b32_e32 v3, 0
	v_add3_u32 v11, v11, v7, v6
	s_cbranch_vccnz .LBB3_8
; %bb.7:
	v_lshlrev_b64 v[2:3], 4, v[10:11]
	v_mov_b32_e32 v4, s42
	v_add_co_u32_e32 v2, vcc, s33, v2
	v_addc_co_u32_e32 v3, vcc, v4, v3, vcc
	global_load_dwordx4 v[4:7], v[2:3], off
	s_waitcnt vmcnt(0)
	v_mul_f64 v[2:3], s[40:41], v[6:7]
	v_mul_f64 v[6:7], s[38:39], v[6:7]
	v_fma_f64 v[2:3], s[38:39], v[4:5], -v[2:3]
	v_fma_f64 v[4:5], s[40:41], v[4:5], v[6:7]
.LBB3_8:
	s_mov_b64 s[8:9], exec
.LBB3_9:
	s_or_b64 exec, exec, s[4:5]
	s_and_b64 s[28:29], s[8:9], exec
	s_or_b64 exec, exec, s[2:3]
	s_and_b64 vcc, exec, s[0:1]
	s_cbranch_vccnz .LBB3_12
	s_branch .LBB3_27
.LBB3_10:
	s_mov_b64 s[28:29], 0
                                        ; implicit-def: $vgpr4_vgpr5
                                        ; implicit-def: $vgpr10_vgpr11
	s_cbranch_execnz .LBB3_12
	s_branch .LBB3_27
.LBB3_11:
	s_or_b64 exec, exec, s[2:3]
	s_and_b64 vcc, exec, s[0:1]
	s_cbranch_vccz .LBB3_27
.LBB3_12:
	v_lshrrev_b32_e32 v16, 6, v13
	v_mov_b32_e32 v4, 0
	v_mov_b32_e32 v2, 0
	;; [unrolled: 1-line block ×4, first 2 shown]
	v_cmp_gt_i32_e32 vcc, s31, v16
	s_and_saveexec_b64 s[34:35], vcc
	s_cbranch_execz .LBB3_20
; %bb.13:
	s_mul_i32 s0, s21, s7
	s_mul_hi_u32 s1, s20, s7
	s_add_i32 s1, s1, s0
	s_mul_i32 s0, s20, s7
	s_lshl_b64 s[0:1], s[0:1], 4
	s_add_u32 s2, s16, s0
	s_addc_u32 s4, s17, s1
	s_lshl_b64 s[0:1], s[18:19], 4
	s_add_u32 s44, s2, s0
	v_lshrrev_b32_e32 v4, 6, v13
	v_mad_u64_u32 v[2:3], s[2:3], s26, v4, 0
	s_addc_u32 s45, s4, s1
	s_bitcmp1_b32 s30, 0
	s_cselect_b64 vcc, -1, 0
	s_lshl_b32 s2, s31, 1
	s_or_b32 s30, s2, 1
	s_mul_i32 s2, s37, s7
	s_mul_hi_u32 s3, s36, s7
	v_mad_u64_u32 v[3:4], s[0:1], s27, v4, v[3:4]
	s_add_i32 s3, s3, s2
	s_mul_i32 s2, s36, s7
	s_lshl_b64 s[2:3], s[2:3], 4
	s_lshl_b64 s[4:5], s[24:25], 4
	s_add_u32 s4, s22, s4
	s_addc_u32 s5, s23, s5
	v_lshlrev_b64 v[2:3], 4, v[2:3]
	s_add_u32 s2, s4, s2
	s_addc_u32 s3, s5, s3
	v_mov_b32_e32 v4, s3
	v_add_co_u32_e64 v2, s[2:3], s2, v2
	v_addc_co_u32_e64 v3, s[2:3], v4, v3, s[2:3]
	v_add_co_u32_e64 v6, s[2:3], 8, v2
	v_mov_b32_e32 v4, 0
	v_addc_co_u32_e64 v7, s[2:3], 0, v3, s[2:3]
	v_mov_b32_e32 v5, 0
	v_mov_b32_e32 v2, v4
	v_cmp_gt_i32_e64 s[0:1], s31, v14
	s_lshl_b64 s[16:17], s[26:27], 8
	v_add_u32_e32 v17, s43, v15
	s_mov_b64 s[18:19], 0
	s_xor_b64 s[20:21], vcc, -1
	v_mov_b32_e32 v3, v5
	s_branch .LBB3_16
.LBB3_14:                               ;   in Loop: Header=BB3_16 Depth=1
	s_or_b64 exec, exec, s[8:9]
	global_load_dwordx4 v[18:21], v[6:7], off offset:-8
	global_load_dwordx2 v[22:23], v[10:11], off
	s_waitcnt vmcnt(1)
	v_mul_f64 v[10:11], v[8:9], v[20:21]
	s_waitcnt vmcnt(0)
	v_mul_f64 v[20:21], v[22:23], v[20:21]
	v_fma_f64 v[10:11], v[22:23], v[18:19], -v[10:11]
	v_fma_f64 v[8:9], v[8:9], v[18:19], v[20:21]
	v_add_f64 v[2:3], v[2:3], v[10:11]
	v_add_f64 v[4:5], v[4:5], v[8:9]
.LBB3_15:                               ;   in Loop: Header=BB3_16 Depth=1
	s_or_b64 exec, exec, s[22:23]
	v_add_u32_e32 v16, 16, v16
	v_cmp_le_i32_e64 s[2:3], s31, v16
	v_mov_b32_e32 v8, s17
	s_or_b64 s[18:19], s[2:3], s[18:19]
	v_add_co_u32_e64 v6, s[2:3], s16, v6
	v_addc_co_u32_e64 v7, s[2:3], v7, v8, s[2:3]
	s_andn2_b64 exec, exec, s[18:19]
	s_cbranch_execz .LBB3_19
.LBB3_16:                               ; =>This Inner Loop Header: Depth=1
	s_and_saveexec_b64 s[22:23], s[0:1]
	s_cbranch_execz .LBB3_15
; %bb.17:                               ;   in Loop: Header=BB3_16 Depth=1
	v_cmp_le_i32_e64 s[2:3], v14, v16
	s_or_b64 s[4:5], s[20:21], s[2:3]
	v_cmp_ge_i32_e64 s[2:3], v14, v16
	s_or_b64 s[2:3], vcc, s[2:3]
	s_and_b64 s[2:3], s[4:5], s[2:3]
	v_cndmask_b32_e64 v11, v14, v16, s[2:3]
	v_sub_u32_e32 v8, s30, v11
	v_add_u32_e32 v9, 1, v11
	v_cndmask_b32_e32 v8, v8, v9, vcc
	v_mad_i64_i32 v[8:9], s[4:5], v8, v11, 0
	v_cndmask_b32_e64 v10, v16, v14, s[2:3]
	v_cndmask_b32_e64 v11, v11, 0, vcc
	v_sub_u32_e32 v10, v10, v11
	v_lshrrev_b32_e32 v11, 31, v9
	v_add_co_u32_e64 v8, s[4:5], v8, v11
	v_addc_co_u32_e64 v9, s[4:5], 0, v9, s[4:5]
	v_lshlrev_b64 v[8:9], 3, v[8:9]
	v_ashrrev_i32_e32 v11, 31, v10
	v_and_b32_e32 v8, -16, v8
	v_mov_b32_e32 v18, s45
	v_add_co_u32_e64 v19, s[8:9], s44, v8
	v_lshlrev_b64 v[10:11], 4, v[10:11]
	v_addc_co_u32_e64 v18, s[8:9], v18, v9, s[8:9]
	v_mov_b32_e32 v8, 0
	v_add_co_u32_e64 v10, s[8:9], v19, v10
	v_cmp_ne_u32_e64 s[4:5], v17, v16
	v_mov_b32_e32 v9, 0
	v_addc_co_u32_e64 v11, s[8:9], v18, v11, s[8:9]
	s_and_saveexec_b64 s[8:9], s[4:5]
	s_cbranch_execz .LBB3_14
; %bb.18:                               ;   in Loop: Header=BB3_16 Depth=1
	global_load_dwordx2 v[8:9], v[10:11], off offset:8
	s_waitcnt vmcnt(0)
	v_xor_b32_e32 v18, 0x80000000, v9
	v_cndmask_b32_e64 v9, v18, v9, s[2:3]
	s_branch .LBB3_14
.LBB3_19:
	s_or_b64 exec, exec, s[18:19]
.LBB3_20:
	s_or_b64 exec, exec, s[34:35]
	s_mov_b32 s0, 0x1ffc0
	v_and_or_b32 v6, v13, s0, v15
	v_cmp_gt_u32_e32 vcc, 64, v13
	v_cmp_gt_i32_e64 s[0:1], s31, v14
	v_lshlrev_b32_e32 v6, 4, v6
	s_and_b64 s[2:3], vcc, s[0:1]
	ds_write_b128 v6, v[2:5]
	s_waitcnt lgkmcnt(0)
	s_barrier
                                        ; implicit-def: $vgpr4_vgpr5
                                        ; implicit-def: $vgpr10_vgpr11
	s_and_saveexec_b64 s[0:1], s[2:3]
	s_cbranch_execz .LBB3_26
; %bb.21:
	v_lshlrev_b32_e32 v3, 4, v0
	v_lshl_add_u32 v2, v12, 4, v3
	v_lshl_add_u32 v3, v1, 10, v3
	ds_read_b128 v[4:7], v2
	ds_read_b128 v[8:11], v3 offset:1024
	v_add_u32_e32 v1, s6, v1
	v_lshl_or_b32 v0, v1, 6, v0
	ds_read_b128 v[12:15], v3 offset:15360
	v_mov_b32_e32 v1, 0
	s_waitcnt lgkmcnt(1)
	v_add_f64 v[8:9], v[4:5], v[8:9]
	v_add_f64 v[10:11], v[6:7], v[10:11]
	ds_read_b128 v[4:7], v3 offset:2048
	s_ashr_i32 s3, s31, 31
	s_mov_b32 s2, s31
	v_cmp_gt_i64_e32 vcc, s[2:3], v[0:1]
	s_mov_b64 s[4:5], s[28:29]
	s_waitcnt lgkmcnt(0)
	v_add_f64 v[8:9], v[8:9], v[4:5]
	v_add_f64 v[10:11], v[10:11], v[6:7]
	ds_read_b128 v[4:7], v3 offset:3072
	s_waitcnt lgkmcnt(0)
	v_add_f64 v[8:9], v[8:9], v[4:5]
	v_add_f64 v[10:11], v[10:11], v[6:7]
	ds_read_b128 v[4:7], v3 offset:4096
	s_waitcnt lgkmcnt(0)
	v_add_f64 v[8:9], v[8:9], v[4:5]
	v_add_f64 v[10:11], v[10:11], v[6:7]
	ds_read_b128 v[4:7], v3 offset:5120
	s_waitcnt lgkmcnt(0)
	v_add_f64 v[8:9], v[8:9], v[4:5]
	v_add_f64 v[10:11], v[10:11], v[6:7]
	ds_read_b128 v[4:7], v3 offset:6144
	s_waitcnt lgkmcnt(0)
	v_add_f64 v[8:9], v[8:9], v[4:5]
	v_add_f64 v[10:11], v[10:11], v[6:7]
	ds_read_b128 v[4:7], v3 offset:7168
	s_waitcnt lgkmcnt(0)
	v_add_f64 v[8:9], v[8:9], v[4:5]
	v_add_f64 v[10:11], v[10:11], v[6:7]
	ds_read_b128 v[4:7], v3 offset:8192
	s_waitcnt lgkmcnt(0)
	v_add_f64 v[8:9], v[8:9], v[4:5]
	v_add_f64 v[10:11], v[10:11], v[6:7]
	ds_read_b128 v[4:7], v3 offset:9216
	s_waitcnt lgkmcnt(0)
	v_add_f64 v[4:5], v[8:9], v[4:5]
	v_add_f64 v[6:7], v[10:11], v[6:7]
	ds_read_b128 v[8:11], v3 offset:10240
	ds_write_b128 v2, v[4:7]
	s_waitcnt lgkmcnt(1)
	v_add_f64 v[4:5], v[4:5], v[8:9]
	v_add_f64 v[6:7], v[6:7], v[10:11]
	ds_read_b128 v[8:11], v3 offset:11264
	ds_write_b128 v2, v[4:7]
	s_waitcnt lgkmcnt(1)
	v_add_f64 v[4:5], v[4:5], v[8:9]
	v_add_f64 v[6:7], v[6:7], v[10:11]
	ds_read_b128 v[8:11], v3 offset:12288
	;; [unrolled: 5-line block ×4, first 2 shown]
	s_waitcnt lgkmcnt(0)
	v_add_f64 v[8:9], v[4:5], v[8:9]
	v_add_f64 v[10:11], v[6:7], v[10:11]
	ds_write_b128 v2, v[4:7]
	v_add_f64 v[6:7], v[8:9], v[12:13]
	ds_write_b128 v2, v[8:11]
	v_add_f64 v[8:9], v[10:11], v[14:15]
                                        ; implicit-def: $vgpr10_vgpr11
	ds_write_b128 v2, v[6:9]
                                        ; implicit-def: $vgpr4_vgpr5
	s_and_saveexec_b64 s[2:3], vcc
	s_cbranch_execz .LBB3_25
; %bb.22:
	v_mul_f64 v[1:2], s[14:15], v[8:9]
	v_mul_f64 v[4:5], s[12:13], v[8:9]
	v_cmp_neq_f64_e64 s[4:5], s[38:39], 0
	v_cmp_neq_f64_e64 s[6:7], s[40:41], 0
	v_mad_u64_u32 v[10:11], s[8:9], s10, v0, 0
	v_fma_f64 v[2:3], s[12:13], v[6:7], -v[1:2]
	v_fma_f64 v[4:5], s[14:15], v[6:7], v[4:5]
	v_mov_b32_e32 v1, v11
	s_or_b64 s[4:5], s[4:5], s[6:7]
	s_andn2_b64 vcc, exec, s[4:5]
	v_mad_u64_u32 v[0:1], s[8:9], s11, v0, v[1:2]
	v_mov_b32_e32 v11, v0
	s_cbranch_vccnz .LBB3_24
; %bb.23:
	v_lshlrev_b64 v[0:1], 4, v[10:11]
	v_mov_b32_e32 v6, s42
	v_add_co_u32_e32 v0, vcc, s33, v0
	v_addc_co_u32_e32 v1, vcc, v6, v1, vcc
	global_load_dwordx4 v[6:9], v[0:1], off
	s_waitcnt vmcnt(0)
	v_mul_f64 v[0:1], s[40:41], v[8:9]
	v_mul_f64 v[8:9], s[38:39], v[8:9]
	v_fma_f64 v[0:1], s[38:39], v[6:7], -v[0:1]
	v_fma_f64 v[6:7], s[40:41], v[6:7], v[8:9]
	v_add_f64 v[2:3], v[2:3], v[0:1]
	v_add_f64 v[4:5], v[4:5], v[6:7]
.LBB3_24:
	s_or_b64 s[4:5], s[28:29], exec
.LBB3_25:
	s_or_b64 exec, exec, s[2:3]
	s_andn2_b64 s[2:3], s[28:29], exec
	s_and_b64 s[4:5], s[4:5], exec
	s_or_b64 s[28:29], s[2:3], s[4:5]
.LBB3_26:
	s_or_b64 exec, exec, s[0:1]
.LBB3_27:
	s_and_saveexec_b64 s[0:1], s[28:29]
	s_cbranch_execz .LBB3_29
; %bb.28:
	v_lshlrev_b64 v[0:1], 4, v[10:11]
	v_mov_b32_e32 v6, s42
	v_add_co_u32_e32 v0, vcc, s33, v0
	v_addc_co_u32_e32 v1, vcc, v6, v1, vcc
	global_store_dwordx4 v[0:1], v[2:5], off
.LBB3_29:
	s_endpgm
	.section	.rodata,"a",@progbits
	.p2align	6, 0x0
	.amdhsa_kernel _ZL19rocblas_hpmv_kernelILi64ELi16E19rocblas_complex_numIdEPKS1_PS1_EvbiT1_T2_llS6_lllS5_T3_llli
		.amdhsa_group_segment_fixed_size 16384
		.amdhsa_private_segment_fixed_size 0
		.amdhsa_kernarg_size 132
		.amdhsa_user_sgpr_count 6
		.amdhsa_user_sgpr_private_segment_buffer 1
		.amdhsa_user_sgpr_dispatch_ptr 0
		.amdhsa_user_sgpr_queue_ptr 0
		.amdhsa_user_sgpr_kernarg_segment_ptr 1
		.amdhsa_user_sgpr_dispatch_id 0
		.amdhsa_user_sgpr_flat_scratch_init 0
		.amdhsa_user_sgpr_private_segment_size 0
		.amdhsa_uses_dynamic_stack 0
		.amdhsa_system_sgpr_private_segment_wavefront_offset 0
		.amdhsa_system_sgpr_workgroup_id_x 1
		.amdhsa_system_sgpr_workgroup_id_y 0
		.amdhsa_system_sgpr_workgroup_id_z 1
		.amdhsa_system_sgpr_workgroup_info 0
		.amdhsa_system_vgpr_workitem_id 1
		.amdhsa_next_free_vgpr 29
		.amdhsa_next_free_sgpr 61
		.amdhsa_reserve_vcc 1
		.amdhsa_reserve_flat_scratch 0
		.amdhsa_float_round_mode_32 0
		.amdhsa_float_round_mode_16_64 0
		.amdhsa_float_denorm_mode_32 3
		.amdhsa_float_denorm_mode_16_64 3
		.amdhsa_dx10_clamp 1
		.amdhsa_ieee_mode 1
		.amdhsa_fp16_overflow 0
		.amdhsa_exception_fp_ieee_invalid_op 0
		.amdhsa_exception_fp_denorm_src 0
		.amdhsa_exception_fp_ieee_div_zero 0
		.amdhsa_exception_fp_ieee_overflow 0
		.amdhsa_exception_fp_ieee_underflow 0
		.amdhsa_exception_fp_ieee_inexact 0
		.amdhsa_exception_int_div_zero 0
	.end_amdhsa_kernel
	.section	.text._ZL19rocblas_hpmv_kernelILi64ELi16E19rocblas_complex_numIdEPKS1_PS1_EvbiT1_T2_llS6_lllS5_T3_llli,"axG",@progbits,_ZL19rocblas_hpmv_kernelILi64ELi16E19rocblas_complex_numIdEPKS1_PS1_EvbiT1_T2_llS6_lllS5_T3_llli,comdat
.Lfunc_end3:
	.size	_ZL19rocblas_hpmv_kernelILi64ELi16E19rocblas_complex_numIdEPKS1_PS1_EvbiT1_T2_llS6_lllS5_T3_llli, .Lfunc_end3-_ZL19rocblas_hpmv_kernelILi64ELi16E19rocblas_complex_numIdEPKS1_PS1_EvbiT1_T2_llS6_lllS5_T3_llli
                                        ; -- End function
	.set _ZL19rocblas_hpmv_kernelILi64ELi16E19rocblas_complex_numIdEPKS1_PS1_EvbiT1_T2_llS6_lllS5_T3_llli.num_vgpr, 24
	.set _ZL19rocblas_hpmv_kernelILi64ELi16E19rocblas_complex_numIdEPKS1_PS1_EvbiT1_T2_llS6_lllS5_T3_llli.num_agpr, 0
	.set _ZL19rocblas_hpmv_kernelILi64ELi16E19rocblas_complex_numIdEPKS1_PS1_EvbiT1_T2_llS6_lllS5_T3_llli.numbered_sgpr, 46
	.set _ZL19rocblas_hpmv_kernelILi64ELi16E19rocblas_complex_numIdEPKS1_PS1_EvbiT1_T2_llS6_lllS5_T3_llli.num_named_barrier, 0
	.set _ZL19rocblas_hpmv_kernelILi64ELi16E19rocblas_complex_numIdEPKS1_PS1_EvbiT1_T2_llS6_lllS5_T3_llli.private_seg_size, 0
	.set _ZL19rocblas_hpmv_kernelILi64ELi16E19rocblas_complex_numIdEPKS1_PS1_EvbiT1_T2_llS6_lllS5_T3_llli.uses_vcc, 1
	.set _ZL19rocblas_hpmv_kernelILi64ELi16E19rocblas_complex_numIdEPKS1_PS1_EvbiT1_T2_llS6_lllS5_T3_llli.uses_flat_scratch, 0
	.set _ZL19rocblas_hpmv_kernelILi64ELi16E19rocblas_complex_numIdEPKS1_PS1_EvbiT1_T2_llS6_lllS5_T3_llli.has_dyn_sized_stack, 0
	.set _ZL19rocblas_hpmv_kernelILi64ELi16E19rocblas_complex_numIdEPKS1_PS1_EvbiT1_T2_llS6_lllS5_T3_llli.has_recursion, 0
	.set _ZL19rocblas_hpmv_kernelILi64ELi16E19rocblas_complex_numIdEPKS1_PS1_EvbiT1_T2_llS6_lllS5_T3_llli.has_indirect_call, 0
	.section	.AMDGPU.csdata,"",@progbits
; Kernel info:
; codeLenInByte = 1856
; TotalNumSgprs: 50
; NumVgprs: 24
; ScratchSize: 0
; MemoryBound: 0
; FloatMode: 240
; IeeeMode: 1
; LDSByteSize: 16384 bytes/workgroup (compile time only)
; SGPRBlocks: 8
; VGPRBlocks: 7
; NumSGPRsForWavesPerEU: 65
; NumVGPRsForWavesPerEU: 29
; Occupancy: 8
; WaveLimiterHint : 0
; COMPUTE_PGM_RSRC2:SCRATCH_EN: 0
; COMPUTE_PGM_RSRC2:USER_SGPR: 6
; COMPUTE_PGM_RSRC2:TRAP_HANDLER: 0
; COMPUTE_PGM_RSRC2:TGID_X_EN: 1
; COMPUTE_PGM_RSRC2:TGID_Y_EN: 0
; COMPUTE_PGM_RSRC2:TGID_Z_EN: 1
; COMPUTE_PGM_RSRC2:TIDIG_COMP_CNT: 1
	.section	.text._ZL19rocblas_hpmv_kernelILi64ELi16EPK19rocblas_complex_numIfEPKS3_PKPS1_EvbiT1_T2_llSA_lllS9_T3_llli,"axG",@progbits,_ZL19rocblas_hpmv_kernelILi64ELi16EPK19rocblas_complex_numIfEPKS3_PKPS1_EvbiT1_T2_llSA_lllS9_T3_llli,comdat
	.globl	_ZL19rocblas_hpmv_kernelILi64ELi16EPK19rocblas_complex_numIfEPKS3_PKPS1_EvbiT1_T2_llSA_lllS9_T3_llli ; -- Begin function _ZL19rocblas_hpmv_kernelILi64ELi16EPK19rocblas_complex_numIfEPKS3_PKPS1_EvbiT1_T2_llSA_lllS9_T3_llli
	.p2align	8
	.type	_ZL19rocblas_hpmv_kernelILi64ELi16EPK19rocblas_complex_numIfEPKS3_PKPS1_EvbiT1_T2_llSA_lllS9_T3_llli,@function
_ZL19rocblas_hpmv_kernelILi64ELi16EPK19rocblas_complex_numIfEPKS3_PKPS1_EvbiT1_T2_llSA_lllS9_T3_llli: ; @_ZL19rocblas_hpmv_kernelILi64ELi16EPK19rocblas_complex_numIfEPKS3_PKPS1_EvbiT1_T2_llSA_lllS9_T3_llli
; %bb.0:
	s_load_dwordx4 s[0:3], s[4:5], 0x8
	s_load_dwordx8 s[8:15], s[4:5], 0x48
	s_mov_b32 s24, s7
	s_waitcnt lgkmcnt(0)
	s_load_dwordx2 s[18:19], s[0:1], 0x0
	s_load_dwordx2 s[16:17], s[8:9], 0x0
	s_waitcnt lgkmcnt(0)
	v_cmp_neq_f32_e64 s[0:1], s18, 0
	v_cmp_neq_f32_e64 s[8:9], s19, 0
	s_or_b64 s[8:9], s[0:1], s[8:9]
	s_mov_b64 s[0:1], -1
	s_and_b64 vcc, exec, s[8:9]
	s_cbranch_vccnz .LBB4_2
; %bb.1:
	v_cmp_neq_f32_e64 s[0:1], s16, 1.0
	v_cmp_neq_f32_e64 s[8:9], s17, 0
	s_or_b64 s[0:1], s[0:1], s[8:9]
.LBB4_2:
	s_andn2_b64 vcc, exec, s[0:1]
	s_cbranch_vccnz .LBB4_30
; %bb.3:
	s_or_b32 s0, s18, s19
	s_bitset0_b32 s0, 31
	s_cmp_lg_u32 s0, 0
	s_cselect_b64 s[28:29], -1, 0
	s_cmp_eq_u32 s0, 0
	s_mov_b32 s25, 0
	s_cselect_b64 s[26:27], -1, 0
	s_and_b64 vcc, exec, s[28:29]
	s_cbranch_vccnz .LBB4_5
; %bb.4:
	s_mov_b64 s[8:9], 0
	s_mov_b64 s[20:21], 0
	s_cbranch_execz .LBB4_6
	s_branch .LBB4_7
.LBB4_5:
	s_mov_b64 s[8:9], 0
	s_mov_b64 s[20:21], 0
.LBB4_6:
	s_lshl_b64 s[20:21], s[24:25], 3
	s_add_u32 s2, s2, s20
	s_load_dwordx2 s[0:1], s[4:5], 0x18
	s_addc_u32 s3, s3, s21
	s_load_dwordx2 s[2:3], s[2:3], 0x0
	s_waitcnt lgkmcnt(0)
	s_lshl_b64 s[0:1], s[0:1], 3
	s_add_u32 s20, s2, s0
	s_addc_u32 s21, s3, s1
.LBB4_7:
	s_load_dwordx4 s[0:3], s[4:5], 0x28
	s_load_dwordx2 s[22:23], s[4:5], 0x38
	s_andn2_b64 vcc, exec, s[28:29]
	s_cbranch_vccnz .LBB4_9
; %bb.8:
	s_lshl_b64 s[8:9], s[24:25], 3
	s_waitcnt lgkmcnt(0)
	s_add_u32 s0, s0, s8
	s_addc_u32 s1, s1, s9
	s_load_dwordx2 s[0:1], s[0:1], 0x0
	s_lshl_b64 s[2:3], s[2:3], 3
	s_waitcnt lgkmcnt(0)
	s_add_u32 s8, s0, s2
	s_addc_u32 s9, s1, s3
.LBB4_9:
	s_waitcnt lgkmcnt(0)
	s_lshl_b64 s[0:1], s[24:25], 3
	s_add_u32 s0, s10, s0
	s_addc_u32 s1, s11, s1
	s_load_dwordx2 s[2:3], s[0:1], 0x0
	s_load_dwordx2 s[10:11], s[4:5], 0x0
	s_lshl_b64 s[0:1], s[12:13], 3
	v_lshlrev_b32_e32 v8, 6, v1
	v_and_b32_e32 v11, 63, v0
	s_waitcnt lgkmcnt(0)
	s_add_u32 s7, s2, s0
	s_addc_u32 s30, s3, s1
	s_lshl_b32 s24, s6, 6
	v_add_u32_e32 v9, v8, v0
	v_or_b32_e32 v10, s24, v11
	s_mov_b64 s[4:5], -1
	s_andn2_b64 vcc, exec, s[26:27]
	v_cmp_gt_i32_e64 s[0:1], s11, v10
	v_cmp_gt_u32_e64 s[2:3], 64, v9
	s_cbranch_vccnz .LBB4_16
; %bb.10:
	s_and_b64 s[2:3], s[2:3], s[0:1]
	s_and_saveexec_b64 s[0:1], s[2:3]
	s_cbranch_execz .LBB4_15
; %bb.11:
	v_add_u32_e32 v2, s6, v1
	v_lshl_or_b32 v2, v2, 6, v0
	v_cmp_gt_i32_e32 vcc, s11, v2
	s_and_b64 exec, exec, vcc
	s_cbranch_execz .LBB4_15
; %bb.12:
	v_ashrrev_i32_e32 v3, 31, v2
	v_mul_lo_u32 v5, s15, v2
	v_mul_lo_u32 v6, s14, v3
	v_mad_u64_u32 v[3:4], s[2:3], s14, v2, 0
	v_cmp_neq_f32_e64 s[2:3], s16, 0
	v_cmp_neq_f32_e64 s[4:5], s17, 0
	v_add3_u32 v4, v4, v6, v5
	s_or_b64 s[2:3], s[2:3], s[4:5]
	v_lshlrev_b64 v[4:5], 3, v[3:4]
	v_mov_b32_e32 v2, 0
	s_andn2_b64 vcc, exec, s[2:3]
	v_mov_b32_e32 v3, 0
	s_cbranch_vccnz .LBB4_14
; %bb.13:
	v_mov_b32_e32 v3, s30
	v_add_co_u32_e32 v2, vcc, s7, v4
	v_addc_co_u32_e32 v3, vcc, v3, v5, vcc
	flat_load_dwordx2 v[6:7], v[2:3]
	s_waitcnt vmcnt(0) lgkmcnt(0)
	v_mul_f32_e32 v2, s17, v7
	v_mul_f32_e32 v3, s16, v7
	v_fma_f32 v2, s16, v6, -v2
	v_fmac_f32_e32 v3, s17, v6
.LBB4_14:
	v_mov_b32_e32 v6, s30
	v_add_co_u32_e32 v4, vcc, s7, v4
	v_addc_co_u32_e32 v5, vcc, v6, v5, vcc
	flat_store_dwordx2 v[4:5], v[2:3]
.LBB4_15:
	s_or_b64 exec, exec, s[0:1]
	s_mov_b64 s[4:5], 0
.LBB4_16:
	s_andn2_b64 vcc, exec, s[4:5]
	s_cbranch_vccnz .LBB4_30
; %bb.17:
	v_lshrrev_b32_e32 v12, 6, v9
	v_cmp_gt_i32_e32 vcc, s11, v12
	v_mov_b32_e32 v3, 0
	v_mov_b32_e32 v2, 0
	s_and_saveexec_b64 s[12:13], vcc
	s_cbranch_execz .LBB4_25
; %bb.18:
	v_lshrrev_b32_e32 v4, 6, v9
	v_mad_u64_u32 v[2:3], s[0:1], s22, v4, 0
	s_bitcmp1_b32 s10, 0
	s_cselect_b64 vcc, -1, 0
	v_mad_u64_u32 v[3:4], s[0:1], s23, v4, v[3:4]
	s_lshl_b32 s2, s11, 1
	s_or_b32 s10, s2, 1
	v_lshlrev_b64 v[2:3], 3, v[2:3]
	v_mov_b32_e32 v5, s9
	v_add_co_u32_e64 v4, s[2:3], s8, v2
	v_addc_co_u32_e64 v5, s[2:3], v5, v3, s[2:3]
	s_lshl_b64 s[22:23], s[22:23], 7
	v_mov_b32_e32 v3, 0
	v_cmp_gt_i32_e64 s[0:1], s11, v10
	v_add_u32_e32 v13, s24, v11
	s_mov_b64 s[24:25], 0
	s_xor_b64 s[26:27], vcc, -1
	v_mov_b32_e32 v14, s23
	v_mov_b32_e32 v2, v3
	s_branch .LBB4_21
.LBB4_19:                               ;   in Loop: Header=BB4_21 Depth=1
	s_or_b64 exec, exec, s[8:9]
	flat_load_dwordx2 v[16:17], v[4:5]
	flat_load_dword v18, v[6:7]
	s_waitcnt vmcnt(0) lgkmcnt(0)
	v_mul_f32_e32 v6, v15, v17
	v_mul_f32_e32 v7, v18, v17
	v_fma_f32 v6, v18, v16, -v6
	v_fmac_f32_e32 v7, v15, v16
	v_add_f32_e32 v2, v2, v6
	v_add_f32_e32 v3, v3, v7
.LBB4_20:                               ;   in Loop: Header=BB4_21 Depth=1
	s_or_b64 exec, exec, s[28:29]
	v_add_u32_e32 v12, 16, v12
	v_cmp_le_i32_e64 s[2:3], s11, v12
	s_or_b64 s[24:25], s[2:3], s[24:25]
	v_add_co_u32_e64 v4, s[2:3], s22, v4
	v_addc_co_u32_e64 v5, s[2:3], v5, v14, s[2:3]
	s_andn2_b64 exec, exec, s[24:25]
	s_cbranch_execz .LBB4_24
.LBB4_21:                               ; =>This Inner Loop Header: Depth=1
	s_and_saveexec_b64 s[28:29], s[0:1]
	s_cbranch_execz .LBB4_20
; %bb.22:                               ;   in Loop: Header=BB4_21 Depth=1
	v_cmp_le_i32_e64 s[2:3], v10, v12
	s_or_b64 s[4:5], s[26:27], s[2:3]
	v_cmp_ge_i32_e64 s[2:3], v10, v12
	s_or_b64 s[2:3], vcc, s[2:3]
	s_and_b64 s[2:3], s[4:5], s[2:3]
	v_cndmask_b32_e64 v16, v10, v12, s[2:3]
	v_sub_u32_e32 v6, s10, v16
	v_add_u32_e32 v7, 1, v16
	v_cndmask_b32_e32 v6, v6, v7, vcc
	v_mad_i64_i32 v[6:7], s[4:5], v6, v16, 0
	v_cndmask_b32_e64 v15, v12, v10, s[2:3]
	v_cndmask_b32_e64 v16, v16, 0, vcc
	v_sub_u32_e32 v15, v15, v16
	v_lshrrev_b32_e32 v16, 31, v7
	v_add_co_u32_e64 v6, s[4:5], v6, v16
	v_addc_co_u32_e64 v7, s[4:5], 0, v7, s[4:5]
	v_lshlrev_b64 v[6:7], 2, v[6:7]
	v_ashrrev_i32_e32 v16, 31, v15
	v_and_b32_e32 v6, -8, v6
	v_mov_b32_e32 v17, s21
	v_add_co_u32_e64 v18, s[8:9], s20, v6
	v_addc_co_u32_e64 v17, s[8:9], v17, v7, s[8:9]
	v_lshlrev_b64 v[6:7], 3, v[15:16]
	v_cmp_ne_u32_e64 s[4:5], v13, v12
	v_add_co_u32_e64 v6, s[8:9], v18, v6
	v_addc_co_u32_e64 v7, s[8:9], v17, v7, s[8:9]
	v_mov_b32_e32 v15, 0
	s_and_saveexec_b64 s[8:9], s[4:5]
	s_cbranch_execz .LBB4_19
; %bb.23:                               ;   in Loop: Header=BB4_21 Depth=1
	flat_load_dword v15, v[6:7] offset:4
	s_waitcnt vmcnt(0) lgkmcnt(0)
	v_cndmask_b32_e64 v15, -v15, v15, s[2:3]
	s_branch .LBB4_19
.LBB4_24:
	s_or_b64 exec, exec, s[24:25]
.LBB4_25:
	s_or_b64 exec, exec, s[12:13]
	s_mov_b32 s0, 0x1ffc0
	v_and_or_b32 v4, v9, s0, v11
	v_cmp_gt_u32_e32 vcc, 64, v9
	v_cmp_gt_i32_e64 s[0:1], s11, v10
	v_lshlrev_b32_e32 v4, 3, v4
	s_and_b64 s[0:1], vcc, s[0:1]
	ds_write_b64 v4, v[2:3]
	s_waitcnt vmcnt(0) lgkmcnt(0)
	s_barrier
	s_and_saveexec_b64 s[2:3], s[0:1]
	s_cbranch_execz .LBB4_30
; %bb.26:
	v_lshlrev_b32_e32 v2, 3, v0
	v_lshl_add_u32 v12, v8, 3, v2
	ds_read_b64 v[10:11], v12
	v_lshl_add_u32 v13, v1, 9, v2
	ds_read2st64_b64 v[2:5], v13 offset0:1 offset1:2
	ds_read2st64_b64 v[6:9], v13 offset0:3 offset1:4
	v_add_u32_e32 v1, s6, v1
	v_lshl_or_b32 v0, v1, 6, v0
	v_mov_b32_e32 v1, 0
	s_waitcnt lgkmcnt(1)
	v_add_f32_e32 v2, v10, v2
	v_add_f32_e32 v3, v11, v3
	;; [unrolled: 1-line block ×4, first 2 shown]
	s_waitcnt lgkmcnt(0)
	v_add_f32_e32 v6, v2, v6
	ds_read2st64_b64 v[2:5], v13 offset0:5 offset1:6
	v_add_f32_e32 v7, v10, v7
	v_add_f32_e32 v10, v6, v8
	v_add_f32_e32 v11, v7, v9
	ds_read2st64_b64 v[6:9], v13 offset0:7 offset1:8
	s_waitcnt lgkmcnt(1)
	v_add_f32_e32 v2, v10, v2
	v_add_f32_e32 v3, v11, v3
	;; [unrolled: 1-line block ×4, first 2 shown]
	s_waitcnt lgkmcnt(0)
	v_add_f32_e32 v6, v2, v6
	ds_read2st64_b64 v[2:5], v13 offset0:9 offset1:10
	v_add_f32_e32 v7, v10, v7
	v_add_f32_e32 v10, v6, v8
	;; [unrolled: 1-line block ×3, first 2 shown]
	ds_read2st64_b64 v[6:9], v13 offset0:11 offset1:12
	s_waitcnt lgkmcnt(1)
	v_add_f32_e32 v2, v10, v2
	v_add_f32_e32 v3, v11, v3
	ds_write_b64 v12, v[2:3]
	v_add_f32_e32 v2, v2, v4
	v_add_f32_e32 v3, v3, v5
	ds_write_b64 v12, v[2:3]
	s_waitcnt lgkmcnt(2)
	v_add_f32_e32 v6, v2, v6
	v_add_f32_e32 v7, v3, v7
	ds_read2st64_b64 v[2:5], v13 offset0:13 offset1:14
	ds_write_b64 v12, v[6:7]
	v_add_f32_e32 v6, v6, v8
	v_add_f32_e32 v7, v7, v9
	ds_read_b64 v[8:9], v13 offset:7680
	s_waitcnt lgkmcnt(2)
	v_add_f32_e32 v2, v6, v2
	v_add_f32_e32 v3, v7, v3
	s_ashr_i32 s1, s11, 31
	s_mov_b32 s0, s11
	ds_write_b64 v12, v[6:7]
	ds_write_b64 v12, v[2:3]
	v_add_f32_e32 v2, v2, v4
	v_add_f32_e32 v3, v3, v5
	v_cmp_gt_i64_e32 vcc, s[0:1], v[0:1]
	ds_write_b64 v12, v[2:3]
	s_waitcnt lgkmcnt(3)
	v_add_f32_e32 v2, v2, v8
	v_add_f32_e32 v3, v3, v9
	ds_write_b64 v12, v[2:3]
	s_and_b64 exec, exec, vcc
	s_cbranch_execz .LBB4_30
; %bb.27:
	v_mad_u64_u32 v[4:5], s[0:1], s14, v0, 0
	v_cmp_neq_f32_e64 s[0:1], s16, 0
	v_cmp_neq_f32_e64 s[2:3], s17, 0
	v_mov_b32_e32 v1, v5
	v_mad_u64_u32 v[5:6], s[4:5], s15, v0, v[1:2]
	v_mul_f32_e32 v0, s19, v3
	v_mul_f32_e32 v1, s18, v3
	s_or_b64 s[0:1], s[0:1], s[2:3]
	v_lshlrev_b64 v[3:4], 3, v[4:5]
	v_fma_f32 v0, v2, s18, -v0
	s_andn2_b64 vcc, exec, s[0:1]
	v_fmac_f32_e32 v1, s19, v2
	s_cbranch_vccnz .LBB4_29
; %bb.28:
	v_mov_b32_e32 v2, s30
	v_add_co_u32_e32 v5, vcc, s7, v3
	v_addc_co_u32_e32 v6, vcc, v2, v4, vcc
	flat_load_dwordx2 v[5:6], v[5:6]
	s_waitcnt vmcnt(0) lgkmcnt(0)
	v_mul_f32_e32 v2, s17, v6
	v_mul_f32_e32 v6, s16, v6
	v_fma_f32 v2, s16, v5, -v2
	v_fmac_f32_e32 v6, s17, v5
	v_add_f32_e32 v0, v0, v2
	v_add_f32_e32 v1, v1, v6
.LBB4_29:
	v_mov_b32_e32 v5, s30
	v_add_co_u32_e32 v2, vcc, s7, v3
	v_addc_co_u32_e32 v3, vcc, v5, v4, vcc
	flat_store_dwordx2 v[2:3], v[0:1]
.LBB4_30:
	s_endpgm
	.section	.rodata,"a",@progbits
	.p2align	6, 0x0
	.amdhsa_kernel _ZL19rocblas_hpmv_kernelILi64ELi16EPK19rocblas_complex_numIfEPKS3_PKPS1_EvbiT1_T2_llSA_lllS9_T3_llli
		.amdhsa_group_segment_fixed_size 8192
		.amdhsa_private_segment_fixed_size 0
		.amdhsa_kernarg_size 116
		.amdhsa_user_sgpr_count 6
		.amdhsa_user_sgpr_private_segment_buffer 1
		.amdhsa_user_sgpr_dispatch_ptr 0
		.amdhsa_user_sgpr_queue_ptr 0
		.amdhsa_user_sgpr_kernarg_segment_ptr 1
		.amdhsa_user_sgpr_dispatch_id 0
		.amdhsa_user_sgpr_flat_scratch_init 0
		.amdhsa_user_sgpr_private_segment_size 0
		.amdhsa_uses_dynamic_stack 0
		.amdhsa_system_sgpr_private_segment_wavefront_offset 0
		.amdhsa_system_sgpr_workgroup_id_x 1
		.amdhsa_system_sgpr_workgroup_id_y 0
		.amdhsa_system_sgpr_workgroup_id_z 1
		.amdhsa_system_sgpr_workgroup_info 0
		.amdhsa_system_vgpr_workitem_id 1
		.amdhsa_next_free_vgpr 29
		.amdhsa_next_free_sgpr 61
		.amdhsa_reserve_vcc 1
		.amdhsa_reserve_flat_scratch 0
		.amdhsa_float_round_mode_32 0
		.amdhsa_float_round_mode_16_64 0
		.amdhsa_float_denorm_mode_32 3
		.amdhsa_float_denorm_mode_16_64 3
		.amdhsa_dx10_clamp 1
		.amdhsa_ieee_mode 1
		.amdhsa_fp16_overflow 0
		.amdhsa_exception_fp_ieee_invalid_op 0
		.amdhsa_exception_fp_denorm_src 0
		.amdhsa_exception_fp_ieee_div_zero 0
		.amdhsa_exception_fp_ieee_overflow 0
		.amdhsa_exception_fp_ieee_underflow 0
		.amdhsa_exception_fp_ieee_inexact 0
		.amdhsa_exception_int_div_zero 0
	.end_amdhsa_kernel
	.section	.text._ZL19rocblas_hpmv_kernelILi64ELi16EPK19rocblas_complex_numIfEPKS3_PKPS1_EvbiT1_T2_llSA_lllS9_T3_llli,"axG",@progbits,_ZL19rocblas_hpmv_kernelILi64ELi16EPK19rocblas_complex_numIfEPKS3_PKPS1_EvbiT1_T2_llSA_lllS9_T3_llli,comdat
.Lfunc_end4:
	.size	_ZL19rocblas_hpmv_kernelILi64ELi16EPK19rocblas_complex_numIfEPKS3_PKPS1_EvbiT1_T2_llSA_lllS9_T3_llli, .Lfunc_end4-_ZL19rocblas_hpmv_kernelILi64ELi16EPK19rocblas_complex_numIfEPKS3_PKPS1_EvbiT1_T2_llSA_lllS9_T3_llli
                                        ; -- End function
	.set _ZL19rocblas_hpmv_kernelILi64ELi16EPK19rocblas_complex_numIfEPKS3_PKPS1_EvbiT1_T2_llSA_lllS9_T3_llli.num_vgpr, 19
	.set _ZL19rocblas_hpmv_kernelILi64ELi16EPK19rocblas_complex_numIfEPKS3_PKPS1_EvbiT1_T2_llSA_lllS9_T3_llli.num_agpr, 0
	.set _ZL19rocblas_hpmv_kernelILi64ELi16EPK19rocblas_complex_numIfEPKS3_PKPS1_EvbiT1_T2_llSA_lllS9_T3_llli.numbered_sgpr, 31
	.set _ZL19rocblas_hpmv_kernelILi64ELi16EPK19rocblas_complex_numIfEPKS3_PKPS1_EvbiT1_T2_llSA_lllS9_T3_llli.num_named_barrier, 0
	.set _ZL19rocblas_hpmv_kernelILi64ELi16EPK19rocblas_complex_numIfEPKS3_PKPS1_EvbiT1_T2_llSA_lllS9_T3_llli.private_seg_size, 0
	.set _ZL19rocblas_hpmv_kernelILi64ELi16EPK19rocblas_complex_numIfEPKS3_PKPS1_EvbiT1_T2_llSA_lllS9_T3_llli.uses_vcc, 1
	.set _ZL19rocblas_hpmv_kernelILi64ELi16EPK19rocblas_complex_numIfEPKS3_PKPS1_EvbiT1_T2_llSA_lllS9_T3_llli.uses_flat_scratch, 0
	.set _ZL19rocblas_hpmv_kernelILi64ELi16EPK19rocblas_complex_numIfEPKS3_PKPS1_EvbiT1_T2_llSA_lllS9_T3_llli.has_dyn_sized_stack, 0
	.set _ZL19rocblas_hpmv_kernelILi64ELi16EPK19rocblas_complex_numIfEPKS3_PKPS1_EvbiT1_T2_llSA_lllS9_T3_llli.has_recursion, 0
	.set _ZL19rocblas_hpmv_kernelILi64ELi16EPK19rocblas_complex_numIfEPKS3_PKPS1_EvbiT1_T2_llSA_lllS9_T3_llli.has_indirect_call, 0
	.section	.AMDGPU.csdata,"",@progbits
; Kernel info:
; codeLenInByte = 1552
; TotalNumSgprs: 35
; NumVgprs: 19
; ScratchSize: 0
; MemoryBound: 0
; FloatMode: 240
; IeeeMode: 1
; LDSByteSize: 8192 bytes/workgroup (compile time only)
; SGPRBlocks: 8
; VGPRBlocks: 7
; NumSGPRsForWavesPerEU: 65
; NumVGPRsForWavesPerEU: 29
; Occupancy: 8
; WaveLimiterHint : 1
; COMPUTE_PGM_RSRC2:SCRATCH_EN: 0
; COMPUTE_PGM_RSRC2:USER_SGPR: 6
; COMPUTE_PGM_RSRC2:TRAP_HANDLER: 0
; COMPUTE_PGM_RSRC2:TGID_X_EN: 1
; COMPUTE_PGM_RSRC2:TGID_Y_EN: 0
; COMPUTE_PGM_RSRC2:TGID_Z_EN: 1
; COMPUTE_PGM_RSRC2:TIDIG_COMP_CNT: 1
	.section	.text._ZL19rocblas_hpmv_kernelILi64ELi16E19rocblas_complex_numIfEPKPKS1_PKPS1_EvbiT1_T2_llSA_lllS9_T3_llli,"axG",@progbits,_ZL19rocblas_hpmv_kernelILi64ELi16E19rocblas_complex_numIfEPKPKS1_PKPS1_EvbiT1_T2_llSA_lllS9_T3_llli,comdat
	.globl	_ZL19rocblas_hpmv_kernelILi64ELi16E19rocblas_complex_numIfEPKPKS1_PKPS1_EvbiT1_T2_llSA_lllS9_T3_llli ; -- Begin function _ZL19rocblas_hpmv_kernelILi64ELi16E19rocblas_complex_numIfEPKPKS1_PKPS1_EvbiT1_T2_llSA_lllS9_T3_llli
	.p2align	8
	.type	_ZL19rocblas_hpmv_kernelILi64ELi16E19rocblas_complex_numIfEPKPKS1_PKPS1_EvbiT1_T2_llSA_lllS9_T3_llli,@function
_ZL19rocblas_hpmv_kernelILi64ELi16E19rocblas_complex_numIfEPKPKS1_PKPS1_EvbiT1_T2_llSA_lllS9_T3_llli: ; @_ZL19rocblas_hpmv_kernelILi64ELi16E19rocblas_complex_numIfEPKPKS1_PKPS1_EvbiT1_T2_llSA_lllS9_T3_llli
; %bb.0:
	s_load_dwordx4 s[12:15], s[4:5], 0x0
	s_load_dwordx2 s[10:11], s[4:5], 0x48
	s_mov_b32 s22, s7
	s_waitcnt lgkmcnt(0)
	v_cmp_neq_f32_e64 s[0:1], s14, 0
	v_cmp_neq_f32_e64 s[2:3], s15, 0
	s_or_b64 s[2:3], s[0:1], s[2:3]
	s_mov_b64 s[0:1], -1
	s_and_b64 vcc, exec, s[2:3]
	s_cbranch_vccnz .LBB5_2
; %bb.1:
	v_cmp_neq_f32_e64 s[0:1], s10, 1.0
	v_cmp_neq_f32_e64 s[2:3], s11, 0
	s_or_b64 s[0:1], s[0:1], s[2:3]
.LBB5_2:
	s_andn2_b64 vcc, exec, s[0:1]
	s_cbranch_vccnz .LBB5_30
; %bb.3:
	s_or_b32 s0, s14, s15
	s_bitset0_b32 s0, 31
	s_cmp_lg_u32 s0, 0
	s_cselect_b64 s[16:17], -1, 0
	s_cmp_eq_u32 s0, 0
	s_mov_b32 s23, 0
	s_cselect_b64 s[24:25], -1, 0
	s_and_b64 vcc, exec, s[16:17]
	s_cbranch_vccnz .LBB5_5
; %bb.4:
	s_mov_b64 s[8:9], 0
	s_mov_b64 s[18:19], 0
	s_cbranch_execz .LBB5_6
	s_branch .LBB5_7
.LBB5_5:
	s_mov_b64 s[8:9], 0
	s_mov_b64 s[18:19], 0
.LBB5_6:
	s_load_dwordx4 s[0:3], s[4:5], 0x10
	s_lshl_b64 s[18:19], s[22:23], 3
	s_waitcnt lgkmcnt(0)
	s_add_u32 s0, s0, s18
	s_addc_u32 s1, s1, s19
	s_load_dwordx2 s[0:1], s[0:1], 0x0
	s_lshl_b64 s[2:3], s[2:3], 3
	s_waitcnt lgkmcnt(0)
	s_add_u32 s18, s0, s2
	s_addc_u32 s19, s1, s3
.LBB5_7:
	s_load_dwordx4 s[0:3], s[4:5], 0x28
	s_load_dwordx2 s[20:21], s[4:5], 0x38
	s_andn2_b64 vcc, exec, s[16:17]
	s_cbranch_vccnz .LBB5_9
; %bb.8:
	s_lshl_b64 s[8:9], s[22:23], 3
	s_waitcnt lgkmcnt(0)
	s_add_u32 s0, s0, s8
	s_addc_u32 s1, s1, s9
	s_load_dwordx2 s[0:1], s[0:1], 0x0
	s_lshl_b64 s[2:3], s[2:3], 3
	s_waitcnt lgkmcnt(0)
	s_add_u32 s8, s0, s2
	s_addc_u32 s9, s1, s3
.LBB5_9:
	s_waitcnt lgkmcnt(0)
	s_load_dwordx4 s[0:3], s[4:5], 0x50
	s_load_dwordx2 s[16:17], s[4:5], 0x60
	s_lshl_b64 s[4:5], s[22:23], 3
	v_lshlrev_b32_e32 v8, 6, v1
	v_and_b32_e32 v10, 63, v0
	s_waitcnt lgkmcnt(0)
	s_add_u32 s0, s0, s4
	s_addc_u32 s1, s1, s5
	s_load_dwordx2 s[0:1], s[0:1], 0x0
	s_lshl_b64 s[2:3], s[2:3], 3
	v_add_u32_e32 v9, v8, v0
	s_mov_b64 s[4:5], -1
	s_waitcnt lgkmcnt(0)
	s_add_u32 s7, s0, s2
	s_addc_u32 s30, s1, s3
	s_lshl_b32 s26, s6, 6
	v_or_b32_e32 v11, s26, v10
	s_andn2_b64 vcc, exec, s[24:25]
	v_cmp_gt_i32_e64 s[0:1], s13, v11
	v_cmp_gt_u32_e64 s[2:3], 64, v9
	s_cbranch_vccnz .LBB5_16
; %bb.10:
	s_and_b64 s[2:3], s[2:3], s[0:1]
	s_and_saveexec_b64 s[0:1], s[2:3]
	s_cbranch_execz .LBB5_15
; %bb.11:
	v_add_u32_e32 v2, s6, v1
	v_lshl_or_b32 v2, v2, 6, v0
	v_cmp_gt_i32_e32 vcc, s13, v2
	s_and_b64 exec, exec, vcc
	s_cbranch_execz .LBB5_15
; %bb.12:
	v_ashrrev_i32_e32 v3, 31, v2
	v_mul_lo_u32 v5, s17, v2
	v_mul_lo_u32 v6, s16, v3
	v_mad_u64_u32 v[3:4], s[2:3], s16, v2, 0
	v_cmp_neq_f32_e64 s[2:3], s10, 0
	v_cmp_neq_f32_e64 s[4:5], s11, 0
	v_add3_u32 v4, v4, v6, v5
	s_or_b64 s[2:3], s[2:3], s[4:5]
	v_lshlrev_b64 v[4:5], 3, v[3:4]
	v_mov_b32_e32 v2, 0
	s_andn2_b64 vcc, exec, s[2:3]
	v_mov_b32_e32 v3, 0
	s_cbranch_vccnz .LBB5_14
; %bb.13:
	v_mov_b32_e32 v3, s30
	v_add_co_u32_e32 v2, vcc, s7, v4
	v_addc_co_u32_e32 v3, vcc, v3, v5, vcc
	flat_load_dwordx2 v[6:7], v[2:3]
	s_waitcnt vmcnt(0) lgkmcnt(0)
	v_mul_f32_e32 v2, s11, v7
	v_mul_f32_e32 v3, s10, v7
	v_fma_f32 v2, s10, v6, -v2
	v_fmac_f32_e32 v3, s11, v6
.LBB5_14:
	v_mov_b32_e32 v6, s30
	v_add_co_u32_e32 v4, vcc, s7, v4
	v_addc_co_u32_e32 v5, vcc, v6, v5, vcc
	flat_store_dwordx2 v[4:5], v[2:3]
.LBB5_15:
	s_or_b64 exec, exec, s[0:1]
	s_mov_b64 s[4:5], 0
.LBB5_16:
	s_andn2_b64 vcc, exec, s[4:5]
	s_cbranch_vccnz .LBB5_30
; %bb.17:
	v_lshrrev_b32_e32 v12, 6, v9
	v_cmp_gt_i32_e32 vcc, s13, v12
	v_mov_b32_e32 v3, 0
	v_mov_b32_e32 v2, 0
	s_and_saveexec_b64 s[22:23], vcc
	s_cbranch_execz .LBB5_25
; %bb.18:
	v_lshrrev_b32_e32 v4, 6, v9
	v_mad_u64_u32 v[2:3], s[0:1], s20, v4, 0
	s_bitcmp1_b32 s12, 0
	s_cselect_b64 vcc, -1, 0
	v_mad_u64_u32 v[3:4], s[0:1], s21, v4, v[3:4]
	s_lshl_b32 s2, s13, 1
	s_or_b32 s12, s2, 1
	v_lshlrev_b64 v[2:3], 3, v[2:3]
	v_mov_b32_e32 v5, s9
	v_add_co_u32_e64 v4, s[2:3], s8, v2
	v_addc_co_u32_e64 v5, s[2:3], v5, v3, s[2:3]
	s_lshl_b64 s[20:21], s[20:21], 7
	v_mov_b32_e32 v3, 0
	v_cmp_gt_i32_e64 s[0:1], s13, v11
	v_add_u32_e32 v13, s26, v10
	s_mov_b64 s[24:25], 0
	s_xor_b64 s[26:27], vcc, -1
	v_mov_b32_e32 v14, s21
	v_mov_b32_e32 v2, v3
	s_branch .LBB5_21
.LBB5_19:                               ;   in Loop: Header=BB5_21 Depth=1
	s_or_b64 exec, exec, s[8:9]
	flat_load_dwordx2 v[16:17], v[4:5]
	flat_load_dword v18, v[6:7]
	s_waitcnt vmcnt(0) lgkmcnt(0)
	v_mul_f32_e32 v6, v15, v17
	v_mul_f32_e32 v7, v18, v17
	v_fma_f32 v6, v18, v16, -v6
	v_fmac_f32_e32 v7, v15, v16
	v_add_f32_e32 v2, v2, v6
	v_add_f32_e32 v3, v3, v7
.LBB5_20:                               ;   in Loop: Header=BB5_21 Depth=1
	s_or_b64 exec, exec, s[28:29]
	v_add_u32_e32 v12, 16, v12
	v_cmp_le_i32_e64 s[2:3], s13, v12
	s_or_b64 s[24:25], s[2:3], s[24:25]
	v_add_co_u32_e64 v4, s[2:3], s20, v4
	v_addc_co_u32_e64 v5, s[2:3], v5, v14, s[2:3]
	s_andn2_b64 exec, exec, s[24:25]
	s_cbranch_execz .LBB5_24
.LBB5_21:                               ; =>This Inner Loop Header: Depth=1
	s_and_saveexec_b64 s[28:29], s[0:1]
	s_cbranch_execz .LBB5_20
; %bb.22:                               ;   in Loop: Header=BB5_21 Depth=1
	v_cmp_le_i32_e64 s[2:3], v11, v12
	s_or_b64 s[4:5], s[26:27], s[2:3]
	v_cmp_ge_i32_e64 s[2:3], v11, v12
	s_or_b64 s[2:3], vcc, s[2:3]
	s_and_b64 s[2:3], s[4:5], s[2:3]
	v_cndmask_b32_e64 v16, v11, v12, s[2:3]
	v_sub_u32_e32 v6, s12, v16
	v_add_u32_e32 v7, 1, v16
	v_cndmask_b32_e32 v6, v6, v7, vcc
	v_mad_i64_i32 v[6:7], s[4:5], v6, v16, 0
	v_cndmask_b32_e64 v15, v12, v11, s[2:3]
	v_cndmask_b32_e64 v16, v16, 0, vcc
	v_sub_u32_e32 v15, v15, v16
	v_lshrrev_b32_e32 v16, 31, v7
	v_add_co_u32_e64 v6, s[4:5], v6, v16
	v_addc_co_u32_e64 v7, s[4:5], 0, v7, s[4:5]
	v_lshlrev_b64 v[6:7], 2, v[6:7]
	v_ashrrev_i32_e32 v16, 31, v15
	v_and_b32_e32 v6, -8, v6
	v_mov_b32_e32 v17, s19
	v_add_co_u32_e64 v18, s[8:9], s18, v6
	v_addc_co_u32_e64 v17, s[8:9], v17, v7, s[8:9]
	v_lshlrev_b64 v[6:7], 3, v[15:16]
	v_cmp_ne_u32_e64 s[4:5], v13, v12
	v_add_co_u32_e64 v6, s[8:9], v18, v6
	v_addc_co_u32_e64 v7, s[8:9], v17, v7, s[8:9]
	v_mov_b32_e32 v15, 0
	s_and_saveexec_b64 s[8:9], s[4:5]
	s_cbranch_execz .LBB5_19
; %bb.23:                               ;   in Loop: Header=BB5_21 Depth=1
	flat_load_dword v15, v[6:7] offset:4
	s_waitcnt vmcnt(0) lgkmcnt(0)
	v_cndmask_b32_e64 v15, -v15, v15, s[2:3]
	s_branch .LBB5_19
.LBB5_24:
	s_or_b64 exec, exec, s[24:25]
.LBB5_25:
	s_or_b64 exec, exec, s[22:23]
	s_mov_b32 s0, 0x1ffc0
	v_and_or_b32 v4, v9, s0, v10
	v_cmp_gt_u32_e32 vcc, 64, v9
	v_cmp_gt_i32_e64 s[0:1], s13, v11
	v_lshlrev_b32_e32 v4, 3, v4
	s_and_b64 s[0:1], vcc, s[0:1]
	ds_write_b64 v4, v[2:3]
	s_waitcnt vmcnt(0) lgkmcnt(0)
	s_barrier
	s_and_saveexec_b64 s[2:3], s[0:1]
	s_cbranch_execz .LBB5_30
; %bb.26:
	v_lshlrev_b32_e32 v2, 3, v0
	v_lshl_add_u32 v12, v8, 3, v2
	ds_read_b64 v[10:11], v12
	v_lshl_add_u32 v13, v1, 9, v2
	ds_read2st64_b64 v[2:5], v13 offset0:1 offset1:2
	ds_read2st64_b64 v[6:9], v13 offset0:3 offset1:4
	v_add_u32_e32 v1, s6, v1
	v_lshl_or_b32 v0, v1, 6, v0
	v_mov_b32_e32 v1, 0
	s_waitcnt lgkmcnt(1)
	v_add_f32_e32 v2, v10, v2
	v_add_f32_e32 v3, v11, v3
	;; [unrolled: 1-line block ×4, first 2 shown]
	s_waitcnt lgkmcnt(0)
	v_add_f32_e32 v6, v2, v6
	ds_read2st64_b64 v[2:5], v13 offset0:5 offset1:6
	v_add_f32_e32 v7, v10, v7
	v_add_f32_e32 v10, v6, v8
	;; [unrolled: 1-line block ×3, first 2 shown]
	ds_read2st64_b64 v[6:9], v13 offset0:7 offset1:8
	s_waitcnt lgkmcnt(1)
	v_add_f32_e32 v2, v10, v2
	v_add_f32_e32 v3, v11, v3
	;; [unrolled: 1-line block ×4, first 2 shown]
	s_waitcnt lgkmcnt(0)
	v_add_f32_e32 v6, v2, v6
	ds_read2st64_b64 v[2:5], v13 offset0:9 offset1:10
	v_add_f32_e32 v7, v10, v7
	v_add_f32_e32 v10, v6, v8
	;; [unrolled: 1-line block ×3, first 2 shown]
	ds_read2st64_b64 v[6:9], v13 offset0:11 offset1:12
	s_waitcnt lgkmcnt(1)
	v_add_f32_e32 v2, v10, v2
	v_add_f32_e32 v3, v11, v3
	ds_write_b64 v12, v[2:3]
	v_add_f32_e32 v2, v2, v4
	v_add_f32_e32 v3, v3, v5
	ds_write_b64 v12, v[2:3]
	s_waitcnt lgkmcnt(2)
	v_add_f32_e32 v6, v2, v6
	v_add_f32_e32 v7, v3, v7
	ds_read2st64_b64 v[2:5], v13 offset0:13 offset1:14
	ds_write_b64 v12, v[6:7]
	v_add_f32_e32 v6, v6, v8
	v_add_f32_e32 v7, v7, v9
	ds_read_b64 v[8:9], v13 offset:7680
	s_waitcnt lgkmcnt(2)
	v_add_f32_e32 v2, v6, v2
	v_add_f32_e32 v3, v7, v3
	s_ashr_i32 s1, s13, 31
	s_mov_b32 s0, s13
	ds_write_b64 v12, v[6:7]
	ds_write_b64 v12, v[2:3]
	v_add_f32_e32 v2, v2, v4
	v_add_f32_e32 v3, v3, v5
	v_cmp_gt_i64_e32 vcc, s[0:1], v[0:1]
	ds_write_b64 v12, v[2:3]
	s_waitcnt lgkmcnt(3)
	v_add_f32_e32 v2, v2, v8
	v_add_f32_e32 v3, v3, v9
	ds_write_b64 v12, v[2:3]
	s_and_b64 exec, exec, vcc
	s_cbranch_execz .LBB5_30
; %bb.27:
	v_mad_u64_u32 v[4:5], s[0:1], s16, v0, 0
	v_cmp_neq_f32_e64 s[0:1], s10, 0
	v_cmp_neq_f32_e64 s[2:3], s11, 0
	v_mov_b32_e32 v1, v5
	v_mad_u64_u32 v[5:6], s[4:5], s17, v0, v[1:2]
	v_mul_f32_e32 v0, s15, v3
	v_mul_f32_e32 v1, s14, v3
	s_or_b64 s[0:1], s[0:1], s[2:3]
	v_lshlrev_b64 v[3:4], 3, v[4:5]
	v_fma_f32 v0, v2, s14, -v0
	s_andn2_b64 vcc, exec, s[0:1]
	v_fmac_f32_e32 v1, s15, v2
	s_cbranch_vccnz .LBB5_29
; %bb.28:
	v_mov_b32_e32 v2, s30
	v_add_co_u32_e32 v5, vcc, s7, v3
	v_addc_co_u32_e32 v6, vcc, v2, v4, vcc
	flat_load_dwordx2 v[5:6], v[5:6]
	s_waitcnt vmcnt(0) lgkmcnt(0)
	v_mul_f32_e32 v2, s11, v6
	v_mul_f32_e32 v6, s10, v6
	v_fma_f32 v2, s10, v5, -v2
	v_fmac_f32_e32 v6, s11, v5
	v_add_f32_e32 v0, v0, v2
	v_add_f32_e32 v1, v1, v6
.LBB5_29:
	v_mov_b32_e32 v5, s30
	v_add_co_u32_e32 v2, vcc, s7, v3
	v_addc_co_u32_e32 v3, vcc, v5, v4, vcc
	flat_store_dwordx2 v[2:3], v[0:1]
.LBB5_30:
	s_endpgm
	.section	.rodata,"a",@progbits
	.p2align	6, 0x0
	.amdhsa_kernel _ZL19rocblas_hpmv_kernelILi64ELi16E19rocblas_complex_numIfEPKPKS1_PKPS1_EvbiT1_T2_llSA_lllS9_T3_llli
		.amdhsa_group_segment_fixed_size 8192
		.amdhsa_private_segment_fixed_size 0
		.amdhsa_kernarg_size 116
		.amdhsa_user_sgpr_count 6
		.amdhsa_user_sgpr_private_segment_buffer 1
		.amdhsa_user_sgpr_dispatch_ptr 0
		.amdhsa_user_sgpr_queue_ptr 0
		.amdhsa_user_sgpr_kernarg_segment_ptr 1
		.amdhsa_user_sgpr_dispatch_id 0
		.amdhsa_user_sgpr_flat_scratch_init 0
		.amdhsa_user_sgpr_private_segment_size 0
		.amdhsa_uses_dynamic_stack 0
		.amdhsa_system_sgpr_private_segment_wavefront_offset 0
		.amdhsa_system_sgpr_workgroup_id_x 1
		.amdhsa_system_sgpr_workgroup_id_y 0
		.amdhsa_system_sgpr_workgroup_id_z 1
		.amdhsa_system_sgpr_workgroup_info 0
		.amdhsa_system_vgpr_workitem_id 1
		.amdhsa_next_free_vgpr 29
		.amdhsa_next_free_sgpr 61
		.amdhsa_reserve_vcc 1
		.amdhsa_reserve_flat_scratch 0
		.amdhsa_float_round_mode_32 0
		.amdhsa_float_round_mode_16_64 0
		.amdhsa_float_denorm_mode_32 3
		.amdhsa_float_denorm_mode_16_64 3
		.amdhsa_dx10_clamp 1
		.amdhsa_ieee_mode 1
		.amdhsa_fp16_overflow 0
		.amdhsa_exception_fp_ieee_invalid_op 0
		.amdhsa_exception_fp_denorm_src 0
		.amdhsa_exception_fp_ieee_div_zero 0
		.amdhsa_exception_fp_ieee_overflow 0
		.amdhsa_exception_fp_ieee_underflow 0
		.amdhsa_exception_fp_ieee_inexact 0
		.amdhsa_exception_int_div_zero 0
	.end_amdhsa_kernel
	.section	.text._ZL19rocblas_hpmv_kernelILi64ELi16E19rocblas_complex_numIfEPKPKS1_PKPS1_EvbiT1_T2_llSA_lllS9_T3_llli,"axG",@progbits,_ZL19rocblas_hpmv_kernelILi64ELi16E19rocblas_complex_numIfEPKPKS1_PKPS1_EvbiT1_T2_llSA_lllS9_T3_llli,comdat
.Lfunc_end5:
	.size	_ZL19rocblas_hpmv_kernelILi64ELi16E19rocblas_complex_numIfEPKPKS1_PKPS1_EvbiT1_T2_llSA_lllS9_T3_llli, .Lfunc_end5-_ZL19rocblas_hpmv_kernelILi64ELi16E19rocblas_complex_numIfEPKPKS1_PKPS1_EvbiT1_T2_llSA_lllS9_T3_llli
                                        ; -- End function
	.set _ZL19rocblas_hpmv_kernelILi64ELi16E19rocblas_complex_numIfEPKPKS1_PKPS1_EvbiT1_T2_llSA_lllS9_T3_llli.num_vgpr, 19
	.set _ZL19rocblas_hpmv_kernelILi64ELi16E19rocblas_complex_numIfEPKPKS1_PKPS1_EvbiT1_T2_llSA_lllS9_T3_llli.num_agpr, 0
	.set _ZL19rocblas_hpmv_kernelILi64ELi16E19rocblas_complex_numIfEPKPKS1_PKPS1_EvbiT1_T2_llSA_lllS9_T3_llli.numbered_sgpr, 31
	.set _ZL19rocblas_hpmv_kernelILi64ELi16E19rocblas_complex_numIfEPKPKS1_PKPS1_EvbiT1_T2_llSA_lllS9_T3_llli.num_named_barrier, 0
	.set _ZL19rocblas_hpmv_kernelILi64ELi16E19rocblas_complex_numIfEPKPKS1_PKPS1_EvbiT1_T2_llSA_lllS9_T3_llli.private_seg_size, 0
	.set _ZL19rocblas_hpmv_kernelILi64ELi16E19rocblas_complex_numIfEPKPKS1_PKPS1_EvbiT1_T2_llSA_lllS9_T3_llli.uses_vcc, 1
	.set _ZL19rocblas_hpmv_kernelILi64ELi16E19rocblas_complex_numIfEPKPKS1_PKPS1_EvbiT1_T2_llSA_lllS9_T3_llli.uses_flat_scratch, 0
	.set _ZL19rocblas_hpmv_kernelILi64ELi16E19rocblas_complex_numIfEPKPKS1_PKPS1_EvbiT1_T2_llSA_lllS9_T3_llli.has_dyn_sized_stack, 0
	.set _ZL19rocblas_hpmv_kernelILi64ELi16E19rocblas_complex_numIfEPKPKS1_PKPS1_EvbiT1_T2_llSA_lllS9_T3_llli.has_recursion, 0
	.set _ZL19rocblas_hpmv_kernelILi64ELi16E19rocblas_complex_numIfEPKPKS1_PKPS1_EvbiT1_T2_llSA_lllS9_T3_llli.has_indirect_call, 0
	.section	.AMDGPU.csdata,"",@progbits
; Kernel info:
; codeLenInByte = 1548
; TotalNumSgprs: 35
; NumVgprs: 19
; ScratchSize: 0
; MemoryBound: 0
; FloatMode: 240
; IeeeMode: 1
; LDSByteSize: 8192 bytes/workgroup (compile time only)
; SGPRBlocks: 8
; VGPRBlocks: 7
; NumSGPRsForWavesPerEU: 65
; NumVGPRsForWavesPerEU: 29
; Occupancy: 8
; WaveLimiterHint : 1
; COMPUTE_PGM_RSRC2:SCRATCH_EN: 0
; COMPUTE_PGM_RSRC2:USER_SGPR: 6
; COMPUTE_PGM_RSRC2:TRAP_HANDLER: 0
; COMPUTE_PGM_RSRC2:TGID_X_EN: 1
; COMPUTE_PGM_RSRC2:TGID_Y_EN: 0
; COMPUTE_PGM_RSRC2:TGID_Z_EN: 1
; COMPUTE_PGM_RSRC2:TIDIG_COMP_CNT: 1
	.section	.text._ZL19rocblas_hpmv_kernelILi64ELi16EPK19rocblas_complex_numIdEPKS3_PKPS1_EvbiT1_T2_llSA_lllS9_T3_llli,"axG",@progbits,_ZL19rocblas_hpmv_kernelILi64ELi16EPK19rocblas_complex_numIdEPKS3_PKPS1_EvbiT1_T2_llSA_lllS9_T3_llli,comdat
	.globl	_ZL19rocblas_hpmv_kernelILi64ELi16EPK19rocblas_complex_numIdEPKS3_PKPS1_EvbiT1_T2_llSA_lllS9_T3_llli ; -- Begin function _ZL19rocblas_hpmv_kernelILi64ELi16EPK19rocblas_complex_numIdEPKS3_PKPS1_EvbiT1_T2_llSA_lllS9_T3_llli
	.p2align	8
	.type	_ZL19rocblas_hpmv_kernelILi64ELi16EPK19rocblas_complex_numIdEPKS3_PKPS1_EvbiT1_T2_llSA_lllS9_T3_llli,@function
_ZL19rocblas_hpmv_kernelILi64ELi16EPK19rocblas_complex_numIdEPKS3_PKPS1_EvbiT1_T2_llSA_lllS9_T3_llli: ; @_ZL19rocblas_hpmv_kernelILi64ELi16EPK19rocblas_complex_numIdEPKS3_PKPS1_EvbiT1_T2_llSA_lllS9_T3_llli
; %bb.0:
	s_load_dwordx4 s[0:3], s[4:5], 0x8
	s_load_dwordx8 s[8:15], s[4:5], 0x48
	s_mov_b32 s34, s7
	s_waitcnt lgkmcnt(0)
	s_load_dwordx4 s[20:23], s[0:1], 0x0
	s_load_dwordx4 s[16:19], s[8:9], 0x0
	s_waitcnt lgkmcnt(0)
	v_cmp_neq_f64_e64 s[0:1], s[20:21], 0
	v_cmp_neq_f64_e64 s[24:25], s[22:23], 0
	s_or_b64 s[36:37], s[0:1], s[24:25]
	s_mov_b64 s[0:1], -1
	s_and_b64 vcc, exec, s[36:37]
	s_cbranch_vccnz .LBB6_2
; %bb.1:
	v_cmp_neq_f64_e64 s[0:1], s[16:17], 1.0
	v_cmp_neq_f64_e64 s[8:9], s[18:19], 0
	s_or_b64 s[0:1], s[0:1], s[8:9]
.LBB6_2:
	s_andn2_b64 vcc, exec, s[0:1]
	s_cbranch_vccnz .LBB6_35
; %bb.3:
	s_xor_b64 s[8:9], s[36:37], -1
	v_cndmask_b32_e64 v2, 0, 1, s[8:9]
	v_cmp_ne_u32_e64 s[0:1], 1, v2
	s_andn2_b64 vcc, exec, s[8:9]
	s_mov_b32 s35, 0
	s_cbranch_vccnz .LBB6_5
; %bb.4:
	s_mov_b64 s[8:9], 0
	s_mov_b64 s[28:29], 0
	s_cbranch_execz .LBB6_6
	s_branch .LBB6_7
.LBB6_5:
	s_mov_b64 s[8:9], 0
	s_mov_b64 s[28:29], 0
.LBB6_6:
	s_lshl_b64 s[26:27], s[34:35], 3
	s_add_u32 s2, s2, s26
	s_load_dwordx2 s[24:25], s[4:5], 0x18
	s_addc_u32 s3, s3, s27
	s_load_dwordx2 s[2:3], s[2:3], 0x0
	s_waitcnt lgkmcnt(0)
	s_lshl_b64 s[24:25], s[24:25], 4
	s_add_u32 s28, s2, s24
	s_addc_u32 s29, s3, s25
.LBB6_7:
	s_load_dwordx4 s[24:27], s[4:5], 0x28
	s_load_dwordx2 s[30:31], s[4:5], 0x38
	s_andn2_b64 vcc, exec, s[36:37]
	s_cbranch_vccnz .LBB6_9
; %bb.8:
	s_lshl_b64 s[2:3], s[34:35], 3
	s_waitcnt lgkmcnt(0)
	s_add_u32 s2, s24, s2
	s_addc_u32 s3, s25, s3
	s_load_dwordx2 s[2:3], s[2:3], 0x0
	s_lshl_b64 s[8:9], s[26:27], 4
	s_waitcnt lgkmcnt(0)
	s_add_u32 s8, s2, s8
	s_addc_u32 s9, s3, s9
.LBB6_9:
	s_lshl_b64 s[2:3], s[34:35], 3
	s_add_u32 s2, s10, s2
	s_addc_u32 s3, s11, s3
	s_load_dwordx2 s[10:11], s[2:3], 0x0
	s_waitcnt lgkmcnt(0)
	s_load_dwordx2 s[24:25], s[4:5], 0x0
	s_lshl_b64 s[2:3], s[12:13], 4
	v_lshlrev_b32_e32 v12, 6, v1
	v_and_b32_e32 v15, 63, v0
	s_add_u32 s7, s10, s2
	s_addc_u32 s33, s11, s3
	s_lshl_b32 s34, s6, 6
	v_add_u32_e32 v13, v12, v0
	v_or_b32_e32 v14, s34, v15
	s_and_b64 vcc, exec, s[0:1]
	s_waitcnt lgkmcnt(0)
	v_cmp_gt_i32_e64 s[0:1], s25, v14
	v_cmp_gt_u32_e64 s[2:3], 64, v13
	s_cbranch_vccnz .LBB6_16
; %bb.10:
	s_and_b64 s[4:5], s[2:3], s[0:1]
	s_mov_b64 s[0:1], 0
	s_mov_b64 s[10:11], 0
                                        ; implicit-def: $vgpr4_vgpr5
                                        ; implicit-def: $vgpr10_vgpr11
	s_and_saveexec_b64 s[2:3], s[4:5]
	s_cbranch_execz .LBB6_17
; %bb.11:
	v_add_u32_e32 v2, s6, v1
	v_lshl_or_b32 v2, v2, 6, v0
	v_cmp_gt_i32_e32 vcc, s25, v2
                                        ; implicit-def: $vgpr4_vgpr5
                                        ; implicit-def: $vgpr10_vgpr11
	s_and_saveexec_b64 s[4:5], vcc
	s_cbranch_execz .LBB6_15
; %bb.12:
	v_cmp_neq_f64_e64 s[10:11], s[16:17], 0
	v_cmp_neq_f64_e64 s[12:13], s[18:19], 0
	v_ashrrev_i32_e32 v3, 31, v2
	v_mul_lo_u32 v6, s15, v2
	v_mad_u64_u32 v[10:11], s[26:27], s14, v2, 0
	v_mul_lo_u32 v7, s14, v3
	v_mov_b32_e32 v4, 0
	v_mov_b32_e32 v2, 0
	s_or_b64 s[10:11], s[10:11], s[12:13]
	v_mov_b32_e32 v5, 0
	s_andn2_b64 vcc, exec, s[10:11]
	v_mov_b32_e32 v3, 0
	v_add3_u32 v11, v11, v7, v6
	s_cbranch_vccnz .LBB6_14
; %bb.13:
	v_lshlrev_b64 v[2:3], 4, v[10:11]
	v_mov_b32_e32 v4, s33
	v_add_co_u32_e32 v2, vcc, s7, v2
	v_addc_co_u32_e32 v3, vcc, v4, v3, vcc
	flat_load_dwordx4 v[4:7], v[2:3]
	s_waitcnt vmcnt(0) lgkmcnt(0)
	v_mul_f64 v[2:3], s[18:19], v[6:7]
	v_mul_f64 v[6:7], s[16:17], v[6:7]
	v_fma_f64 v[2:3], s[16:17], v[4:5], -v[2:3]
	v_fma_f64 v[4:5], s[18:19], v[4:5], v[6:7]
.LBB6_14:
	s_mov_b64 s[10:11], exec
.LBB6_15:
	s_or_b64 exec, exec, s[4:5]
	s_and_b64 s[10:11], s[10:11], exec
	s_or_b64 exec, exec, s[2:3]
	s_and_b64 vcc, exec, s[0:1]
	s_cbranch_vccnz .LBB6_18
	s_branch .LBB6_33
.LBB6_16:
	s_mov_b64 s[10:11], 0
                                        ; implicit-def: $vgpr4_vgpr5
                                        ; implicit-def: $vgpr10_vgpr11
	s_cbranch_execnz .LBB6_18
	s_branch .LBB6_33
.LBB6_17:
	s_or_b64 exec, exec, s[2:3]
	s_and_b64 vcc, exec, s[0:1]
	s_cbranch_vccz .LBB6_33
.LBB6_18:
	v_lshrrev_b32_e32 v16, 6, v13
	v_mov_b32_e32 v4, 0
	v_mov_b32_e32 v2, 0
	;; [unrolled: 1-line block ×4, first 2 shown]
	v_cmp_gt_i32_e32 vcc, s25, v16
	s_and_saveexec_b64 s[12:13], vcc
	s_cbranch_execz .LBB6_26
; %bb.19:
	v_lshrrev_b32_e32 v4, 6, v13
	v_mad_u64_u32 v[2:3], s[0:1], s30, v4, 0
	s_bitcmp1_b32 s24, 0
	s_cselect_b64 vcc, -1, 0
	v_mad_u64_u32 v[3:4], s[0:1], s31, v4, v[3:4]
	s_lshl_b32 s2, s25, 1
	s_or_b32 s24, s2, 1
	v_lshlrev_b64 v[2:3], 4, v[2:3]
	v_mov_b32_e32 v4, s9
	v_add_co_u32_e64 v6, s[2:3], s8, v2
	v_addc_co_u32_e64 v7, s[2:3], v4, v3, s[2:3]
	v_mov_b32_e32 v4, 0
	v_mov_b32_e32 v5, 0
	;; [unrolled: 1-line block ×3, first 2 shown]
	v_cmp_gt_i32_e64 s[0:1], s25, v14
	s_lshl_b64 s[26:27], s[30:31], 8
	v_add_u32_e32 v17, s34, v15
	s_mov_b64 s[30:31], 0
	s_xor_b64 s[34:35], vcc, -1
	v_mov_b32_e32 v3, v5
	s_branch .LBB6_22
.LBB6_20:                               ;   in Loop: Header=BB6_22 Depth=1
	s_or_b64 exec, exec, s[8:9]
	flat_load_dwordx4 v[18:21], v[6:7]
	flat_load_dwordx2 v[22:23], v[10:11]
	s_waitcnt vmcnt(0) lgkmcnt(0)
	v_mul_f64 v[10:11], v[8:9], v[20:21]
	v_mul_f64 v[20:21], v[22:23], v[20:21]
	v_fma_f64 v[10:11], v[22:23], v[18:19], -v[10:11]
	v_fma_f64 v[8:9], v[8:9], v[18:19], v[20:21]
	v_add_f64 v[2:3], v[2:3], v[10:11]
	v_add_f64 v[4:5], v[4:5], v[8:9]
.LBB6_21:                               ;   in Loop: Header=BB6_22 Depth=1
	s_or_b64 exec, exec, s[36:37]
	v_add_u32_e32 v16, 16, v16
	v_cmp_le_i32_e64 s[2:3], s25, v16
	v_mov_b32_e32 v8, s27
	s_or_b64 s[30:31], s[2:3], s[30:31]
	v_add_co_u32_e64 v6, s[2:3], s26, v6
	v_addc_co_u32_e64 v7, s[2:3], v7, v8, s[2:3]
	s_andn2_b64 exec, exec, s[30:31]
	s_cbranch_execz .LBB6_25
.LBB6_22:                               ; =>This Inner Loop Header: Depth=1
	s_and_saveexec_b64 s[36:37], s[0:1]
	s_cbranch_execz .LBB6_21
; %bb.23:                               ;   in Loop: Header=BB6_22 Depth=1
	v_cmp_le_i32_e64 s[2:3], v14, v16
	s_or_b64 s[4:5], s[34:35], s[2:3]
	v_cmp_ge_i32_e64 s[2:3], v14, v16
	s_or_b64 s[2:3], vcc, s[2:3]
	s_and_b64 s[2:3], s[4:5], s[2:3]
	v_cndmask_b32_e64 v11, v14, v16, s[2:3]
	v_sub_u32_e32 v8, s24, v11
	v_add_u32_e32 v9, 1, v11
	v_cndmask_b32_e32 v8, v8, v9, vcc
	v_mad_i64_i32 v[8:9], s[4:5], v8, v11, 0
	v_cndmask_b32_e64 v10, v16, v14, s[2:3]
	v_cndmask_b32_e64 v11, v11, 0, vcc
	v_sub_u32_e32 v10, v10, v11
	v_lshrrev_b32_e32 v11, 31, v9
	v_add_co_u32_e64 v8, s[4:5], v8, v11
	v_addc_co_u32_e64 v9, s[4:5], 0, v9, s[4:5]
	v_lshlrev_b64 v[8:9], 3, v[8:9]
	v_ashrrev_i32_e32 v11, 31, v10
	v_and_b32_e32 v8, -16, v8
	v_mov_b32_e32 v18, s29
	v_add_co_u32_e64 v19, s[8:9], s28, v8
	v_lshlrev_b64 v[10:11], 4, v[10:11]
	v_addc_co_u32_e64 v18, s[8:9], v18, v9, s[8:9]
	v_mov_b32_e32 v8, 0
	v_add_co_u32_e64 v10, s[8:9], v19, v10
	v_cmp_ne_u32_e64 s[4:5], v17, v16
	v_mov_b32_e32 v9, 0
	v_addc_co_u32_e64 v11, s[8:9], v18, v11, s[8:9]
	s_and_saveexec_b64 s[8:9], s[4:5]
	s_cbranch_execz .LBB6_20
; %bb.24:                               ;   in Loop: Header=BB6_22 Depth=1
	flat_load_dwordx2 v[8:9], v[10:11] offset:8
	s_waitcnt vmcnt(0) lgkmcnt(0)
	v_xor_b32_e32 v18, 0x80000000, v9
	v_cndmask_b32_e64 v9, v18, v9, s[2:3]
	s_branch .LBB6_20
.LBB6_25:
	s_or_b64 exec, exec, s[30:31]
.LBB6_26:
	s_or_b64 exec, exec, s[12:13]
	s_mov_b32 s0, 0x1ffc0
	v_and_or_b32 v6, v13, s0, v15
	v_cmp_gt_u32_e32 vcc, 64, v13
	v_cmp_gt_i32_e64 s[0:1], s25, v14
	v_lshlrev_b32_e32 v6, 4, v6
	s_and_b64 s[2:3], vcc, s[0:1]
	ds_write_b128 v6, v[2:5]
	s_waitcnt lgkmcnt(0)
	s_barrier
                                        ; implicit-def: $vgpr4_vgpr5
                                        ; implicit-def: $vgpr10_vgpr11
	s_and_saveexec_b64 s[0:1], s[2:3]
	s_cbranch_execz .LBB6_32
; %bb.27:
	v_lshlrev_b32_e32 v3, 4, v0
	v_lshl_add_u32 v2, v12, 4, v3
	v_lshl_add_u32 v3, v1, 10, v3
	ds_read_b128 v[4:7], v2
	ds_read_b128 v[8:11], v3 offset:1024
	s_ashr_i32 s3, s25, 31
	s_mov_b32 s2, s25
	s_mov_b64 s[4:5], s[10:11]
	ds_read_b128 v[12:15], v3 offset:11264
	s_waitcnt lgkmcnt(1)
	v_add_f64 v[8:9], v[4:5], v[8:9]
	v_add_f64 v[10:11], v[6:7], v[10:11]
	ds_read_b128 v[4:7], v3 offset:2048
	ds_read_b128 v[16:19], v3 offset:12288
	s_waitcnt lgkmcnt(1)
	v_add_f64 v[8:9], v[8:9], v[4:5]
	v_add_f64 v[10:11], v[10:11], v[6:7]
	ds_read_b128 v[4:7], v3 offset:3072
	s_waitcnt lgkmcnt(0)
	v_add_f64 v[8:9], v[8:9], v[4:5]
	v_add_f64 v[10:11], v[10:11], v[6:7]
	;; [unrolled: 4-line block ×9, first 2 shown]
	ds_write_b128 v2, v[4:7]
	ds_read_b128 v[4:7], v3 offset:13312
	v_add_f64 v[12:13], v[8:9], v[12:13]
	v_add_f64 v[14:15], v[10:11], v[14:15]
	ds_write_b128 v2, v[8:11]
                                        ; implicit-def: $vgpr10_vgpr11
	v_add_f64 v[16:17], v[12:13], v[16:17]
	v_add_f64 v[18:19], v[14:15], v[18:19]
	ds_write_b128 v2, v[12:15]
	s_waitcnt lgkmcnt(2)
	v_add_f64 v[20:21], v[16:17], v[4:5]
	v_add_f64 v[22:23], v[18:19], v[6:7]
	ds_read_b128 v[4:7], v3 offset:14336
	s_waitcnt lgkmcnt(0)
	v_add_f64 v[24:25], v[20:21], v[4:5]
	v_add_f64 v[26:27], v[22:23], v[6:7]
	ds_read_b128 v[6:9], v3 offset:15360
	v_add_u32_e32 v3, s6, v1
	v_mov_b32_e32 v1, 0
	v_lshl_or_b32 v0, v3, 6, v0
	v_cmp_gt_i64_e32 vcc, s[2:3], v[0:1]
	s_waitcnt lgkmcnt(0)
	v_add_f64 v[6:7], v[24:25], v[6:7]
	v_add_f64 v[8:9], v[26:27], v[8:9]
	ds_write_b128 v2, v[16:19]
	ds_write_b128 v2, v[20:23]
	;; [unrolled: 1-line block ×4, first 2 shown]
                                        ; implicit-def: $vgpr4_vgpr5
	s_and_saveexec_b64 s[2:3], vcc
	s_cbranch_execz .LBB6_31
; %bb.28:
	v_mul_f64 v[1:2], s[22:23], v[8:9]
	v_mul_f64 v[4:5], s[20:21], v[8:9]
	v_cmp_neq_f64_e64 s[4:5], s[16:17], 0
	v_cmp_neq_f64_e64 s[8:9], s[18:19], 0
	v_mad_u64_u32 v[10:11], s[12:13], s14, v0, 0
	v_fma_f64 v[2:3], s[20:21], v[6:7], -v[1:2]
	v_fma_f64 v[4:5], s[22:23], v[6:7], v[4:5]
	v_mov_b32_e32 v1, v11
	s_or_b64 s[4:5], s[4:5], s[8:9]
	s_andn2_b64 vcc, exec, s[4:5]
	v_mad_u64_u32 v[0:1], s[12:13], s15, v0, v[1:2]
	v_mov_b32_e32 v11, v0
	s_cbranch_vccnz .LBB6_30
; %bb.29:
	v_lshlrev_b64 v[0:1], 4, v[10:11]
	v_mov_b32_e32 v6, s33
	v_add_co_u32_e32 v0, vcc, s7, v0
	v_addc_co_u32_e32 v1, vcc, v6, v1, vcc
	flat_load_dwordx4 v[6:9], v[0:1]
	s_waitcnt vmcnt(0) lgkmcnt(0)
	v_mul_f64 v[0:1], s[18:19], v[8:9]
	v_mul_f64 v[8:9], s[16:17], v[8:9]
	v_fma_f64 v[0:1], s[16:17], v[6:7], -v[0:1]
	v_fma_f64 v[6:7], s[18:19], v[6:7], v[8:9]
	v_add_f64 v[2:3], v[2:3], v[0:1]
	v_add_f64 v[4:5], v[4:5], v[6:7]
.LBB6_30:
	s_or_b64 s[4:5], s[10:11], exec
.LBB6_31:
	s_or_b64 exec, exec, s[2:3]
	s_andn2_b64 s[2:3], s[10:11], exec
	s_and_b64 s[4:5], s[4:5], exec
	s_or_b64 s[10:11], s[2:3], s[4:5]
.LBB6_32:
	s_or_b64 exec, exec, s[0:1]
.LBB6_33:
	s_and_saveexec_b64 s[0:1], s[10:11]
	s_cbranch_execz .LBB6_35
; %bb.34:
	v_lshlrev_b64 v[0:1], 4, v[10:11]
	v_mov_b32_e32 v6, s33
	v_add_co_u32_e32 v0, vcc, s7, v0
	v_addc_co_u32_e32 v1, vcc, v6, v1, vcc
	flat_store_dwordx4 v[0:1], v[2:5]
.LBB6_35:
	s_endpgm
	.section	.rodata,"a",@progbits
	.p2align	6, 0x0
	.amdhsa_kernel _ZL19rocblas_hpmv_kernelILi64ELi16EPK19rocblas_complex_numIdEPKS3_PKPS1_EvbiT1_T2_llSA_lllS9_T3_llli
		.amdhsa_group_segment_fixed_size 16384
		.amdhsa_private_segment_fixed_size 0
		.amdhsa_kernarg_size 116
		.amdhsa_user_sgpr_count 6
		.amdhsa_user_sgpr_private_segment_buffer 1
		.amdhsa_user_sgpr_dispatch_ptr 0
		.amdhsa_user_sgpr_queue_ptr 0
		.amdhsa_user_sgpr_kernarg_segment_ptr 1
		.amdhsa_user_sgpr_dispatch_id 0
		.amdhsa_user_sgpr_flat_scratch_init 0
		.amdhsa_user_sgpr_private_segment_size 0
		.amdhsa_uses_dynamic_stack 0
		.amdhsa_system_sgpr_private_segment_wavefront_offset 0
		.amdhsa_system_sgpr_workgroup_id_x 1
		.amdhsa_system_sgpr_workgroup_id_y 0
		.amdhsa_system_sgpr_workgroup_id_z 1
		.amdhsa_system_sgpr_workgroup_info 0
		.amdhsa_system_vgpr_workitem_id 1
		.amdhsa_next_free_vgpr 29
		.amdhsa_next_free_sgpr 61
		.amdhsa_reserve_vcc 1
		.amdhsa_reserve_flat_scratch 0
		.amdhsa_float_round_mode_32 0
		.amdhsa_float_round_mode_16_64 0
		.amdhsa_float_denorm_mode_32 3
		.amdhsa_float_denorm_mode_16_64 3
		.amdhsa_dx10_clamp 1
		.amdhsa_ieee_mode 1
		.amdhsa_fp16_overflow 0
		.amdhsa_exception_fp_ieee_invalid_op 0
		.amdhsa_exception_fp_denorm_src 0
		.amdhsa_exception_fp_ieee_div_zero 0
		.amdhsa_exception_fp_ieee_overflow 0
		.amdhsa_exception_fp_ieee_underflow 0
		.amdhsa_exception_fp_ieee_inexact 0
		.amdhsa_exception_int_div_zero 0
	.end_amdhsa_kernel
	.section	.text._ZL19rocblas_hpmv_kernelILi64ELi16EPK19rocblas_complex_numIdEPKS3_PKPS1_EvbiT1_T2_llSA_lllS9_T3_llli,"axG",@progbits,_ZL19rocblas_hpmv_kernelILi64ELi16EPK19rocblas_complex_numIdEPKS3_PKPS1_EvbiT1_T2_llSA_lllS9_T3_llli,comdat
.Lfunc_end6:
	.size	_ZL19rocblas_hpmv_kernelILi64ELi16EPK19rocblas_complex_numIdEPKS3_PKPS1_EvbiT1_T2_llSA_lllS9_T3_llli, .Lfunc_end6-_ZL19rocblas_hpmv_kernelILi64ELi16EPK19rocblas_complex_numIdEPKS3_PKPS1_EvbiT1_T2_llSA_lllS9_T3_llli
                                        ; -- End function
	.set _ZL19rocblas_hpmv_kernelILi64ELi16EPK19rocblas_complex_numIdEPKS3_PKPS1_EvbiT1_T2_llSA_lllS9_T3_llli.num_vgpr, 28
	.set _ZL19rocblas_hpmv_kernelILi64ELi16EPK19rocblas_complex_numIdEPKS3_PKPS1_EvbiT1_T2_llSA_lllS9_T3_llli.num_agpr, 0
	.set _ZL19rocblas_hpmv_kernelILi64ELi16EPK19rocblas_complex_numIdEPKS3_PKPS1_EvbiT1_T2_llSA_lllS9_T3_llli.numbered_sgpr, 38
	.set _ZL19rocblas_hpmv_kernelILi64ELi16EPK19rocblas_complex_numIdEPKS3_PKPS1_EvbiT1_T2_llSA_lllS9_T3_llli.num_named_barrier, 0
	.set _ZL19rocblas_hpmv_kernelILi64ELi16EPK19rocblas_complex_numIdEPKS3_PKPS1_EvbiT1_T2_llSA_lllS9_T3_llli.private_seg_size, 0
	.set _ZL19rocblas_hpmv_kernelILi64ELi16EPK19rocblas_complex_numIdEPKS3_PKPS1_EvbiT1_T2_llSA_lllS9_T3_llli.uses_vcc, 1
	.set _ZL19rocblas_hpmv_kernelILi64ELi16EPK19rocblas_complex_numIdEPKS3_PKPS1_EvbiT1_T2_llSA_lllS9_T3_llli.uses_flat_scratch, 0
	.set _ZL19rocblas_hpmv_kernelILi64ELi16EPK19rocblas_complex_numIdEPKS3_PKPS1_EvbiT1_T2_llSA_lllS9_T3_llli.has_dyn_sized_stack, 0
	.set _ZL19rocblas_hpmv_kernelILi64ELi16EPK19rocblas_complex_numIdEPKS3_PKPS1_EvbiT1_T2_llSA_lllS9_T3_llli.has_recursion, 0
	.set _ZL19rocblas_hpmv_kernelILi64ELi16EPK19rocblas_complex_numIdEPKS3_PKPS1_EvbiT1_T2_llSA_lllS9_T3_llli.has_indirect_call, 0
	.section	.AMDGPU.csdata,"",@progbits
; Kernel info:
; codeLenInByte = 1912
; TotalNumSgprs: 42
; NumVgprs: 28
; ScratchSize: 0
; MemoryBound: 0
; FloatMode: 240
; IeeeMode: 1
; LDSByteSize: 16384 bytes/workgroup (compile time only)
; SGPRBlocks: 8
; VGPRBlocks: 7
; NumSGPRsForWavesPerEU: 65
; NumVGPRsForWavesPerEU: 29
; Occupancy: 8
; WaveLimiterHint : 1
; COMPUTE_PGM_RSRC2:SCRATCH_EN: 0
; COMPUTE_PGM_RSRC2:USER_SGPR: 6
; COMPUTE_PGM_RSRC2:TRAP_HANDLER: 0
; COMPUTE_PGM_RSRC2:TGID_X_EN: 1
; COMPUTE_PGM_RSRC2:TGID_Y_EN: 0
; COMPUTE_PGM_RSRC2:TGID_Z_EN: 1
; COMPUTE_PGM_RSRC2:TIDIG_COMP_CNT: 1
	.section	.text._ZL19rocblas_hpmv_kernelILi64ELi16E19rocblas_complex_numIdEPKPKS1_PKPS1_EvbiT1_T2_llSA_lllS9_T3_llli,"axG",@progbits,_ZL19rocblas_hpmv_kernelILi64ELi16E19rocblas_complex_numIdEPKPKS1_PKPS1_EvbiT1_T2_llSA_lllS9_T3_llli,comdat
	.globl	_ZL19rocblas_hpmv_kernelILi64ELi16E19rocblas_complex_numIdEPKPKS1_PKPS1_EvbiT1_T2_llSA_lllS9_T3_llli ; -- Begin function _ZL19rocblas_hpmv_kernelILi64ELi16E19rocblas_complex_numIdEPKPKS1_PKPS1_EvbiT1_T2_llSA_lllS9_T3_llli
	.p2align	8
	.type	_ZL19rocblas_hpmv_kernelILi64ELi16E19rocblas_complex_numIdEPKPKS1_PKPS1_EvbiT1_T2_llSA_lllS9_T3_llli,@function
_ZL19rocblas_hpmv_kernelILi64ELi16E19rocblas_complex_numIdEPKPKS1_PKPS1_EvbiT1_T2_llSA_lllS9_T3_llli: ; @_ZL19rocblas_hpmv_kernelILi64ELi16E19rocblas_complex_numIdEPKPKS1_PKPS1_EvbiT1_T2_llSA_lllS9_T3_llli
; %bb.0:
	s_load_dwordx8 s[20:27], s[4:5], 0x8
	s_load_dwordx8 s[12:19], s[4:5], 0x50
	s_mov_b32 s2, s7
	s_waitcnt lgkmcnt(0)
	v_cmp_neq_f64_e64 s[0:1], s[20:21], 0
	v_cmp_neq_f64_e64 s[8:9], s[22:23], 0
	s_or_b64 s[36:37], s[0:1], s[8:9]
	s_mov_b64 s[0:1], -1
	s_and_b64 vcc, exec, s[36:37]
	s_cbranch_vccnz .LBB7_2
; %bb.1:
	v_cmp_neq_f64_e64 s[0:1], s[12:13], 1.0
	v_cmp_neq_f64_e64 s[8:9], s[14:15], 0
	s_or_b64 s[0:1], s[0:1], s[8:9]
.LBB7_2:
	s_andn2_b64 vcc, exec, s[0:1]
	s_cbranch_vccnz .LBB7_35
; %bb.3:
	s_load_dwordx2 s[28:29], s[4:5], 0x70
	s_xor_b64 s[8:9], s[36:37], -1
	v_cndmask_b32_e64 v2, 0, 1, s[8:9]
	v_cmp_ne_u32_e64 s[0:1], 1, v2
	s_andn2_b64 vcc, exec, s[8:9]
	s_mov_b32 s3, 0
	s_cbranch_vccnz .LBB7_5
; %bb.4:
	s_mov_b64 s[34:35], 0
	s_mov_b64 s[30:31], 0
	s_cbranch_execz .LBB7_6
	s_branch .LBB7_7
.LBB7_5:
	s_mov_b64 s[34:35], 0
	s_mov_b64 s[30:31], 0
.LBB7_6:
	s_lshl_b64 s[8:9], s[2:3], 3
	s_add_u32 s8, s24, s8
	s_addc_u32 s9, s25, s9
	s_load_dwordx2 s[8:9], s[8:9], 0x0
	s_lshl_b64 s[10:11], s[26:27], 4
	s_waitcnt lgkmcnt(0)
	s_add_u32 s30, s8, s10
	s_addc_u32 s31, s9, s11
.LBB7_7:
	s_load_dwordx4 s[8:11], s[4:5], 0x30
	s_load_dwordx2 s[24:25], s[4:5], 0x40
	s_andn2_b64 vcc, exec, s[36:37]
	s_cbranch_vccnz .LBB7_9
; %bb.8:
	s_lshl_b64 s[26:27], s[2:3], 3
	s_waitcnt lgkmcnt(0)
	s_add_u32 s8, s8, s26
	s_addc_u32 s9, s9, s27
	s_load_dwordx2 s[8:9], s[8:9], 0x0
	s_lshl_b64 s[10:11], s[10:11], 4
	s_waitcnt lgkmcnt(0)
	s_add_u32 s34, s8, s10
	s_addc_u32 s35, s9, s11
.LBB7_9:
	s_lshl_b64 s[2:3], s[2:3], 3
	s_add_u32 s2, s16, s2
	s_addc_u32 s3, s17, s3
	s_waitcnt lgkmcnt(0)
	s_load_dwordx2 s[8:9], s[2:3], 0x0
	s_load_dwordx2 s[16:17], s[4:5], 0x0
	s_lshl_b64 s[2:3], s[18:19], 4
	v_lshlrev_b32_e32 v12, 6, v1
	v_and_b32_e32 v15, 63, v0
	s_waitcnt lgkmcnt(0)
	s_add_u32 s7, s8, s2
	s_addc_u32 s33, s9, s3
	s_lshl_b32 s26, s6, 6
	v_add_u32_e32 v13, v12, v0
	v_or_b32_e32 v14, s26, v15
	s_and_b64 vcc, exec, s[0:1]
	v_cmp_gt_i32_e64 s[0:1], s17, v14
	v_cmp_gt_u32_e64 s[2:3], 64, v13
	s_cbranch_vccnz .LBB7_16
; %bb.10:
	s_and_b64 s[4:5], s[2:3], s[0:1]
	s_mov_b64 s[0:1], 0
	s_mov_b64 s[10:11], 0
                                        ; implicit-def: $vgpr4_vgpr5
                                        ; implicit-def: $vgpr10_vgpr11
	s_and_saveexec_b64 s[2:3], s[4:5]
	s_cbranch_execz .LBB7_17
; %bb.11:
	v_add_u32_e32 v2, s6, v1
	v_lshl_or_b32 v2, v2, 6, v0
	v_cmp_gt_i32_e32 vcc, s17, v2
	s_mov_b64 s[8:9], 0
                                        ; implicit-def: $vgpr4_vgpr5
                                        ; implicit-def: $vgpr10_vgpr11
	s_and_saveexec_b64 s[4:5], vcc
	s_cbranch_execz .LBB7_15
; %bb.12:
	v_cmp_neq_f64_e64 s[8:9], s[12:13], 0
	v_cmp_neq_f64_e64 s[10:11], s[14:15], 0
	v_ashrrev_i32_e32 v3, 31, v2
	v_mul_lo_u32 v6, s29, v2
	v_mad_u64_u32 v[10:11], s[18:19], s28, v2, 0
	v_mul_lo_u32 v7, s28, v3
	v_mov_b32_e32 v4, 0
	v_mov_b32_e32 v2, 0
	s_or_b64 s[8:9], s[8:9], s[10:11]
	v_mov_b32_e32 v5, 0
	s_andn2_b64 vcc, exec, s[8:9]
	v_mov_b32_e32 v3, 0
	v_add3_u32 v11, v11, v7, v6
	s_cbranch_vccnz .LBB7_14
; %bb.13:
	v_lshlrev_b64 v[2:3], 4, v[10:11]
	v_mov_b32_e32 v4, s33
	v_add_co_u32_e32 v2, vcc, s7, v2
	v_addc_co_u32_e32 v3, vcc, v4, v3, vcc
	flat_load_dwordx4 v[4:7], v[2:3]
	s_waitcnt vmcnt(0) lgkmcnt(0)
	v_mul_f64 v[2:3], s[14:15], v[6:7]
	v_mul_f64 v[6:7], s[12:13], v[6:7]
	v_fma_f64 v[2:3], s[12:13], v[4:5], -v[2:3]
	v_fma_f64 v[4:5], s[14:15], v[4:5], v[6:7]
.LBB7_14:
	s_mov_b64 s[8:9], exec
.LBB7_15:
	s_or_b64 exec, exec, s[4:5]
	s_and_b64 s[10:11], s[8:9], exec
	s_or_b64 exec, exec, s[2:3]
	s_and_b64 vcc, exec, s[0:1]
	s_cbranch_vccnz .LBB7_18
	s_branch .LBB7_33
.LBB7_16:
	s_mov_b64 s[10:11], 0
                                        ; implicit-def: $vgpr4_vgpr5
                                        ; implicit-def: $vgpr10_vgpr11
	s_cbranch_execnz .LBB7_18
	s_branch .LBB7_33
.LBB7_17:
	s_or_b64 exec, exec, s[2:3]
	s_and_b64 vcc, exec, s[0:1]
	s_cbranch_vccz .LBB7_33
.LBB7_18:
	v_lshrrev_b32_e32 v16, 6, v13
	v_mov_b32_e32 v4, 0
	v_mov_b32_e32 v2, 0
	;; [unrolled: 1-line block ×4, first 2 shown]
	v_cmp_gt_i32_e32 vcc, s17, v16
	s_and_saveexec_b64 s[18:19], vcc
	s_cbranch_execz .LBB7_26
; %bb.19:
	v_lshrrev_b32_e32 v4, 6, v13
	v_mad_u64_u32 v[2:3], s[0:1], s24, v4, 0
	s_bitcmp1_b32 s16, 0
	s_cselect_b64 vcc, -1, 0
	v_mad_u64_u32 v[3:4], s[0:1], s25, v4, v[3:4]
	s_lshl_b32 s2, s17, 1
	s_or_b32 s16, s2, 1
	v_lshlrev_b64 v[2:3], 4, v[2:3]
	v_mov_b32_e32 v4, s35
	v_add_co_u32_e64 v6, s[2:3], s34, v2
	v_addc_co_u32_e64 v7, s[2:3], v4, v3, s[2:3]
	v_mov_b32_e32 v4, 0
	v_mov_b32_e32 v5, 0
	;; [unrolled: 1-line block ×3, first 2 shown]
	v_cmp_gt_i32_e64 s[0:1], s17, v14
	s_lshl_b64 s[24:25], s[24:25], 8
	v_add_u32_e32 v17, s26, v15
	s_mov_b64 s[26:27], 0
	s_xor_b64 s[34:35], vcc, -1
	v_mov_b32_e32 v3, v5
	s_branch .LBB7_22
.LBB7_20:                               ;   in Loop: Header=BB7_22 Depth=1
	s_or_b64 exec, exec, s[8:9]
	flat_load_dwordx4 v[18:21], v[6:7]
	flat_load_dwordx2 v[22:23], v[10:11]
	s_waitcnt vmcnt(0) lgkmcnt(0)
	v_mul_f64 v[10:11], v[8:9], v[20:21]
	v_mul_f64 v[20:21], v[22:23], v[20:21]
	v_fma_f64 v[10:11], v[22:23], v[18:19], -v[10:11]
	v_fma_f64 v[8:9], v[8:9], v[18:19], v[20:21]
	v_add_f64 v[2:3], v[2:3], v[10:11]
	v_add_f64 v[4:5], v[4:5], v[8:9]
.LBB7_21:                               ;   in Loop: Header=BB7_22 Depth=1
	s_or_b64 exec, exec, s[36:37]
	v_add_u32_e32 v16, 16, v16
	v_cmp_le_i32_e64 s[2:3], s17, v16
	v_mov_b32_e32 v8, s25
	s_or_b64 s[26:27], s[2:3], s[26:27]
	v_add_co_u32_e64 v6, s[2:3], s24, v6
	v_addc_co_u32_e64 v7, s[2:3], v7, v8, s[2:3]
	s_andn2_b64 exec, exec, s[26:27]
	s_cbranch_execz .LBB7_25
.LBB7_22:                               ; =>This Inner Loop Header: Depth=1
	s_and_saveexec_b64 s[36:37], s[0:1]
	s_cbranch_execz .LBB7_21
; %bb.23:                               ;   in Loop: Header=BB7_22 Depth=1
	v_cmp_le_i32_e64 s[2:3], v14, v16
	s_or_b64 s[4:5], s[34:35], s[2:3]
	v_cmp_ge_i32_e64 s[2:3], v14, v16
	s_or_b64 s[2:3], vcc, s[2:3]
	s_and_b64 s[2:3], s[4:5], s[2:3]
	v_cndmask_b32_e64 v11, v14, v16, s[2:3]
	v_sub_u32_e32 v8, s16, v11
	v_add_u32_e32 v9, 1, v11
	v_cndmask_b32_e32 v8, v8, v9, vcc
	v_mad_i64_i32 v[8:9], s[4:5], v8, v11, 0
	v_cndmask_b32_e64 v10, v16, v14, s[2:3]
	v_cndmask_b32_e64 v11, v11, 0, vcc
	v_sub_u32_e32 v10, v10, v11
	v_lshrrev_b32_e32 v11, 31, v9
	v_add_co_u32_e64 v8, s[4:5], v8, v11
	v_addc_co_u32_e64 v9, s[4:5], 0, v9, s[4:5]
	v_lshlrev_b64 v[8:9], 3, v[8:9]
	v_ashrrev_i32_e32 v11, 31, v10
	v_and_b32_e32 v8, -16, v8
	v_mov_b32_e32 v18, s31
	v_add_co_u32_e64 v19, s[8:9], s30, v8
	v_lshlrev_b64 v[10:11], 4, v[10:11]
	v_addc_co_u32_e64 v18, s[8:9], v18, v9, s[8:9]
	v_mov_b32_e32 v8, 0
	v_add_co_u32_e64 v10, s[8:9], v19, v10
	v_cmp_ne_u32_e64 s[4:5], v17, v16
	v_mov_b32_e32 v9, 0
	v_addc_co_u32_e64 v11, s[8:9], v18, v11, s[8:9]
	s_and_saveexec_b64 s[8:9], s[4:5]
	s_cbranch_execz .LBB7_20
; %bb.24:                               ;   in Loop: Header=BB7_22 Depth=1
	flat_load_dwordx2 v[8:9], v[10:11] offset:8
	s_waitcnt vmcnt(0) lgkmcnt(0)
	v_xor_b32_e32 v18, 0x80000000, v9
	v_cndmask_b32_e64 v9, v18, v9, s[2:3]
	s_branch .LBB7_20
.LBB7_25:
	s_or_b64 exec, exec, s[26:27]
.LBB7_26:
	s_or_b64 exec, exec, s[18:19]
	s_mov_b32 s0, 0x1ffc0
	v_and_or_b32 v6, v13, s0, v15
	v_cmp_gt_u32_e32 vcc, 64, v13
	v_cmp_gt_i32_e64 s[0:1], s17, v14
	v_lshlrev_b32_e32 v6, 4, v6
	s_and_b64 s[2:3], vcc, s[0:1]
	ds_write_b128 v6, v[2:5]
	s_waitcnt lgkmcnt(0)
	s_barrier
                                        ; implicit-def: $vgpr4_vgpr5
                                        ; implicit-def: $vgpr10_vgpr11
	s_and_saveexec_b64 s[0:1], s[2:3]
	s_cbranch_execz .LBB7_32
; %bb.27:
	v_lshlrev_b32_e32 v3, 4, v0
	v_lshl_add_u32 v2, v12, 4, v3
	v_lshl_add_u32 v3, v1, 10, v3
	ds_read_b128 v[4:7], v2
	ds_read_b128 v[8:11], v3 offset:1024
	s_ashr_i32 s3, s17, 31
	s_mov_b32 s2, s17
	s_mov_b64 s[4:5], s[10:11]
	ds_read_b128 v[12:15], v3 offset:11264
	s_waitcnt lgkmcnt(1)
	v_add_f64 v[8:9], v[4:5], v[8:9]
	v_add_f64 v[10:11], v[6:7], v[10:11]
	ds_read_b128 v[4:7], v3 offset:2048
	ds_read_b128 v[16:19], v3 offset:12288
	s_waitcnt lgkmcnt(1)
	v_add_f64 v[8:9], v[8:9], v[4:5]
	v_add_f64 v[10:11], v[10:11], v[6:7]
	ds_read_b128 v[4:7], v3 offset:3072
	s_waitcnt lgkmcnt(0)
	v_add_f64 v[8:9], v[8:9], v[4:5]
	v_add_f64 v[10:11], v[10:11], v[6:7]
	;; [unrolled: 4-line block ×9, first 2 shown]
	ds_write_b128 v2, v[4:7]
	ds_read_b128 v[4:7], v3 offset:13312
	v_add_f64 v[12:13], v[8:9], v[12:13]
	v_add_f64 v[14:15], v[10:11], v[14:15]
	ds_write_b128 v2, v[8:11]
                                        ; implicit-def: $vgpr10_vgpr11
	v_add_f64 v[16:17], v[12:13], v[16:17]
	v_add_f64 v[18:19], v[14:15], v[18:19]
	ds_write_b128 v2, v[12:15]
	s_waitcnt lgkmcnt(2)
	v_add_f64 v[20:21], v[16:17], v[4:5]
	v_add_f64 v[22:23], v[18:19], v[6:7]
	ds_read_b128 v[4:7], v3 offset:14336
	s_waitcnt lgkmcnt(0)
	v_add_f64 v[24:25], v[20:21], v[4:5]
	v_add_f64 v[26:27], v[22:23], v[6:7]
	ds_read_b128 v[6:9], v3 offset:15360
	v_add_u32_e32 v3, s6, v1
	v_mov_b32_e32 v1, 0
	v_lshl_or_b32 v0, v3, 6, v0
	v_cmp_gt_i64_e32 vcc, s[2:3], v[0:1]
	s_waitcnt lgkmcnt(0)
	v_add_f64 v[6:7], v[24:25], v[6:7]
	v_add_f64 v[8:9], v[26:27], v[8:9]
	ds_write_b128 v2, v[16:19]
	ds_write_b128 v2, v[20:23]
	;; [unrolled: 1-line block ×4, first 2 shown]
                                        ; implicit-def: $vgpr4_vgpr5
	s_and_saveexec_b64 s[2:3], vcc
	s_cbranch_execz .LBB7_31
; %bb.28:
	v_mul_f64 v[1:2], s[22:23], v[8:9]
	v_mul_f64 v[4:5], s[20:21], v[8:9]
	v_cmp_neq_f64_e64 s[4:5], s[12:13], 0
	v_cmp_neq_f64_e64 s[8:9], s[14:15], 0
	v_mad_u64_u32 v[10:11], s[16:17], s28, v0, 0
	v_fma_f64 v[2:3], s[20:21], v[6:7], -v[1:2]
	v_fma_f64 v[4:5], s[22:23], v[6:7], v[4:5]
	v_mov_b32_e32 v1, v11
	s_or_b64 s[4:5], s[4:5], s[8:9]
	s_andn2_b64 vcc, exec, s[4:5]
	v_mad_u64_u32 v[0:1], s[16:17], s29, v0, v[1:2]
	v_mov_b32_e32 v11, v0
	s_cbranch_vccnz .LBB7_30
; %bb.29:
	v_lshlrev_b64 v[0:1], 4, v[10:11]
	v_mov_b32_e32 v6, s33
	v_add_co_u32_e32 v0, vcc, s7, v0
	v_addc_co_u32_e32 v1, vcc, v6, v1, vcc
	flat_load_dwordx4 v[6:9], v[0:1]
	s_waitcnt vmcnt(0) lgkmcnt(0)
	v_mul_f64 v[0:1], s[14:15], v[8:9]
	v_mul_f64 v[8:9], s[12:13], v[8:9]
	v_fma_f64 v[0:1], s[12:13], v[6:7], -v[0:1]
	v_fma_f64 v[6:7], s[14:15], v[6:7], v[8:9]
	v_add_f64 v[2:3], v[2:3], v[0:1]
	v_add_f64 v[4:5], v[4:5], v[6:7]
.LBB7_30:
	s_or_b64 s[4:5], s[10:11], exec
.LBB7_31:
	s_or_b64 exec, exec, s[2:3]
	s_andn2_b64 s[2:3], s[10:11], exec
	s_and_b64 s[4:5], s[4:5], exec
	s_or_b64 s[10:11], s[2:3], s[4:5]
.LBB7_32:
	s_or_b64 exec, exec, s[0:1]
.LBB7_33:
	s_and_saveexec_b64 s[0:1], s[10:11]
	s_cbranch_execz .LBB7_35
; %bb.34:
	v_lshlrev_b64 v[0:1], 4, v[10:11]
	v_mov_b32_e32 v6, s33
	v_add_co_u32_e32 v0, vcc, s7, v0
	v_addc_co_u32_e32 v1, vcc, v6, v1, vcc
	flat_store_dwordx4 v[0:1], v[2:5]
.LBB7_35:
	s_endpgm
	.section	.rodata,"a",@progbits
	.p2align	6, 0x0
	.amdhsa_kernel _ZL19rocblas_hpmv_kernelILi64ELi16E19rocblas_complex_numIdEPKPKS1_PKPS1_EvbiT1_T2_llSA_lllS9_T3_llli
		.amdhsa_group_segment_fixed_size 16384
		.amdhsa_private_segment_fixed_size 0
		.amdhsa_kernarg_size 132
		.amdhsa_user_sgpr_count 6
		.amdhsa_user_sgpr_private_segment_buffer 1
		.amdhsa_user_sgpr_dispatch_ptr 0
		.amdhsa_user_sgpr_queue_ptr 0
		.amdhsa_user_sgpr_kernarg_segment_ptr 1
		.amdhsa_user_sgpr_dispatch_id 0
		.amdhsa_user_sgpr_flat_scratch_init 0
		.amdhsa_user_sgpr_private_segment_size 0
		.amdhsa_uses_dynamic_stack 0
		.amdhsa_system_sgpr_private_segment_wavefront_offset 0
		.amdhsa_system_sgpr_workgroup_id_x 1
		.amdhsa_system_sgpr_workgroup_id_y 0
		.amdhsa_system_sgpr_workgroup_id_z 1
		.amdhsa_system_sgpr_workgroup_info 0
		.amdhsa_system_vgpr_workitem_id 1
		.amdhsa_next_free_vgpr 29
		.amdhsa_next_free_sgpr 61
		.amdhsa_reserve_vcc 1
		.amdhsa_reserve_flat_scratch 0
		.amdhsa_float_round_mode_32 0
		.amdhsa_float_round_mode_16_64 0
		.amdhsa_float_denorm_mode_32 3
		.amdhsa_float_denorm_mode_16_64 3
		.amdhsa_dx10_clamp 1
		.amdhsa_ieee_mode 1
		.amdhsa_fp16_overflow 0
		.amdhsa_exception_fp_ieee_invalid_op 0
		.amdhsa_exception_fp_denorm_src 0
		.amdhsa_exception_fp_ieee_div_zero 0
		.amdhsa_exception_fp_ieee_overflow 0
		.amdhsa_exception_fp_ieee_underflow 0
		.amdhsa_exception_fp_ieee_inexact 0
		.amdhsa_exception_int_div_zero 0
	.end_amdhsa_kernel
	.section	.text._ZL19rocblas_hpmv_kernelILi64ELi16E19rocblas_complex_numIdEPKPKS1_PKPS1_EvbiT1_T2_llSA_lllS9_T3_llli,"axG",@progbits,_ZL19rocblas_hpmv_kernelILi64ELi16E19rocblas_complex_numIdEPKPKS1_PKPS1_EvbiT1_T2_llSA_lllS9_T3_llli,comdat
.Lfunc_end7:
	.size	_ZL19rocblas_hpmv_kernelILi64ELi16E19rocblas_complex_numIdEPKPKS1_PKPS1_EvbiT1_T2_llSA_lllS9_T3_llli, .Lfunc_end7-_ZL19rocblas_hpmv_kernelILi64ELi16E19rocblas_complex_numIdEPKPKS1_PKPS1_EvbiT1_T2_llSA_lllS9_T3_llli
                                        ; -- End function
	.set _ZL19rocblas_hpmv_kernelILi64ELi16E19rocblas_complex_numIdEPKPKS1_PKPS1_EvbiT1_T2_llSA_lllS9_T3_llli.num_vgpr, 28
	.set _ZL19rocblas_hpmv_kernelILi64ELi16E19rocblas_complex_numIdEPKPKS1_PKPS1_EvbiT1_T2_llSA_lllS9_T3_llli.num_agpr, 0
	.set _ZL19rocblas_hpmv_kernelILi64ELi16E19rocblas_complex_numIdEPKPKS1_PKPS1_EvbiT1_T2_llSA_lllS9_T3_llli.numbered_sgpr, 38
	.set _ZL19rocblas_hpmv_kernelILi64ELi16E19rocblas_complex_numIdEPKPKS1_PKPS1_EvbiT1_T2_llSA_lllS9_T3_llli.num_named_barrier, 0
	.set _ZL19rocblas_hpmv_kernelILi64ELi16E19rocblas_complex_numIdEPKPKS1_PKPS1_EvbiT1_T2_llSA_lllS9_T3_llli.private_seg_size, 0
	.set _ZL19rocblas_hpmv_kernelILi64ELi16E19rocblas_complex_numIdEPKPKS1_PKPS1_EvbiT1_T2_llSA_lllS9_T3_llli.uses_vcc, 1
	.set _ZL19rocblas_hpmv_kernelILi64ELi16E19rocblas_complex_numIdEPKPKS1_PKPS1_EvbiT1_T2_llSA_lllS9_T3_llli.uses_flat_scratch, 0
	.set _ZL19rocblas_hpmv_kernelILi64ELi16E19rocblas_complex_numIdEPKPKS1_PKPS1_EvbiT1_T2_llSA_lllS9_T3_llli.has_dyn_sized_stack, 0
	.set _ZL19rocblas_hpmv_kernelILi64ELi16E19rocblas_complex_numIdEPKPKS1_PKPS1_EvbiT1_T2_llSA_lllS9_T3_llli.has_recursion, 0
	.set _ZL19rocblas_hpmv_kernelILi64ELi16E19rocblas_complex_numIdEPKPKS1_PKPS1_EvbiT1_T2_llSA_lllS9_T3_llli.has_indirect_call, 0
	.section	.AMDGPU.csdata,"",@progbits
; Kernel info:
; codeLenInByte = 1896
; TotalNumSgprs: 42
; NumVgprs: 28
; ScratchSize: 0
; MemoryBound: 0
; FloatMode: 240
; IeeeMode: 1
; LDSByteSize: 16384 bytes/workgroup (compile time only)
; SGPRBlocks: 8
; VGPRBlocks: 7
; NumSGPRsForWavesPerEU: 65
; NumVGPRsForWavesPerEU: 29
; Occupancy: 8
; WaveLimiterHint : 1
; COMPUTE_PGM_RSRC2:SCRATCH_EN: 0
; COMPUTE_PGM_RSRC2:USER_SGPR: 6
; COMPUTE_PGM_RSRC2:TRAP_HANDLER: 0
; COMPUTE_PGM_RSRC2:TGID_X_EN: 1
; COMPUTE_PGM_RSRC2:TGID_Y_EN: 0
; COMPUTE_PGM_RSRC2:TGID_Z_EN: 1
; COMPUTE_PGM_RSRC2:TIDIG_COMP_CNT: 1
	.section	.AMDGPU.gpr_maximums,"",@progbits
	.set amdgpu.max_num_vgpr, 0
	.set amdgpu.max_num_agpr, 0
	.set amdgpu.max_num_sgpr, 0
	.section	.AMDGPU.csdata,"",@progbits
	.type	__hip_cuid_c2c4a932479ed922,@object ; @__hip_cuid_c2c4a932479ed922
	.section	.bss,"aw",@nobits
	.globl	__hip_cuid_c2c4a932479ed922
__hip_cuid_c2c4a932479ed922:
	.byte	0                               ; 0x0
	.size	__hip_cuid_c2c4a932479ed922, 1

	.ident	"AMD clang version 22.0.0git (https://github.com/RadeonOpenCompute/llvm-project roc-7.2.4 26084 f58b06dce1f9c15707c5f808fd002e18c2accf7e)"
	.section	".note.GNU-stack","",@progbits
	.addrsig
	.addrsig_sym __hip_cuid_c2c4a932479ed922
	.amdgpu_metadata
---
amdhsa.kernels:
  - .args:
      - .offset:         0
        .size:           1
        .value_kind:     by_value
      - .offset:         4
        .size:           4
        .value_kind:     by_value
      - .address_space:  global
        .offset:         8
        .size:           8
        .value_kind:     global_buffer
      - .address_space:  global
        .offset:         16
        .size:           8
        .value_kind:     global_buffer
      - .offset:         24
        .size:           8
        .value_kind:     by_value
      - .offset:         32
        .size:           8
        .value_kind:     by_value
      - .address_space:  global
        .offset:         40
        .size:           8
        .value_kind:     global_buffer
      - .offset:         48
        .size:           8
        .value_kind:     by_value
      - .offset:         56
        .size:           8
        .value_kind:     by_value
      - .offset:         64
        .size:           8
        .value_kind:     by_value
      - .address_space:  global
        .offset:         72
        .size:           8
        .value_kind:     global_buffer
      - .address_space:  global
        .offset:         80
        .size:           8
        .value_kind:     global_buffer
      - .offset:         88
        .size:           8
        .value_kind:     by_value
      - .offset:         96
        .size:           8
        .value_kind:     by_value
      - .offset:         104
        .size:           8
        .value_kind:     by_value
      - .offset:         112
        .size:           4
        .value_kind:     by_value
    .group_segment_fixed_size: 8192
    .kernarg_segment_align: 8
    .kernarg_segment_size: 116
    .language:       OpenCL C
    .language_version:
      - 2
      - 0
    .max_flat_workgroup_size: 1024
    .name:           _ZL19rocblas_hpmv_kernelILi64ELi16EPK19rocblas_complex_numIfES3_PS1_EvbiT1_T2_llS6_lllS5_T3_llli
    .private_segment_fixed_size: 0
    .sgpr_count:     43
    .sgpr_spill_count: 0
    .symbol:         _ZL19rocblas_hpmv_kernelILi64ELi16EPK19rocblas_complex_numIfES3_PS1_EvbiT1_T2_llS6_lllS5_T3_llli.kd
    .uniform_work_group_size: 1
    .uses_dynamic_stack: false
    .vgpr_count:     19
    .vgpr_spill_count: 0
    .wavefront_size: 64
  - .args:
      - .offset:         0
        .size:           1
        .value_kind:     by_value
      - .offset:         4
        .size:           4
        .value_kind:     by_value
      - .offset:         8
        .size:           8
        .value_kind:     by_value
      - .address_space:  global
        .offset:         16
        .size:           8
        .value_kind:     global_buffer
      - .offset:         24
        .size:           8
        .value_kind:     by_value
      - .offset:         32
        .size:           8
        .value_kind:     by_value
      - .address_space:  global
        .offset:         40
        .size:           8
        .value_kind:     global_buffer
      - .offset:         48
        .size:           8
        .value_kind:     by_value
      - .offset:         56
        .size:           8
        .value_kind:     by_value
      - .offset:         64
        .size:           8
        .value_kind:     by_value
      - .offset:         72
        .size:           8
        .value_kind:     by_value
      - .address_space:  global
        .offset:         80
        .size:           8
        .value_kind:     global_buffer
      - .offset:         88
        .size:           8
        .value_kind:     by_value
      - .offset:         96
        .size:           8
        .value_kind:     by_value
      - .offset:         104
        .size:           8
        .value_kind:     by_value
      - .offset:         112
        .size:           4
        .value_kind:     by_value
    .group_segment_fixed_size: 8192
    .kernarg_segment_align: 8
    .kernarg_segment_size: 116
    .language:       OpenCL C
    .language_version:
      - 2
      - 0
    .max_flat_workgroup_size: 1024
    .name:           _ZL19rocblas_hpmv_kernelILi64ELi16E19rocblas_complex_numIfEPKS1_PS1_EvbiT1_T2_llS6_lllS5_T3_llli
    .private_segment_fixed_size: 0
    .sgpr_count:     45
    .sgpr_spill_count: 0
    .symbol:         _ZL19rocblas_hpmv_kernelILi64ELi16E19rocblas_complex_numIfEPKS1_PS1_EvbiT1_T2_llS6_lllS5_T3_llli.kd
    .uniform_work_group_size: 1
    .uses_dynamic_stack: false
    .vgpr_count:     19
    .vgpr_spill_count: 0
    .wavefront_size: 64
  - .args:
      - .offset:         0
        .size:           1
        .value_kind:     by_value
      - .offset:         4
        .size:           4
        .value_kind:     by_value
      - .address_space:  global
        .offset:         8
        .size:           8
        .value_kind:     global_buffer
      - .address_space:  global
        .offset:         16
        .size:           8
        .value_kind:     global_buffer
      - .offset:         24
        .size:           8
        .value_kind:     by_value
      - .offset:         32
        .size:           8
        .value_kind:     by_value
      - .address_space:  global
        .offset:         40
        .size:           8
        .value_kind:     global_buffer
      - .offset:         48
        .size:           8
        .value_kind:     by_value
      - .offset:         56
        .size:           8
        .value_kind:     by_value
      - .offset:         64
        .size:           8
        .value_kind:     by_value
      - .address_space:  global
        .offset:         72
        .size:           8
        .value_kind:     global_buffer
      - .address_space:  global
        .offset:         80
        .size:           8
        .value_kind:     global_buffer
      - .offset:         88
        .size:           8
        .value_kind:     by_value
      - .offset:         96
        .size:           8
        .value_kind:     by_value
      - .offset:         104
        .size:           8
        .value_kind:     by_value
      - .offset:         112
        .size:           4
        .value_kind:     by_value
    .group_segment_fixed_size: 16384
    .kernarg_segment_align: 8
    .kernarg_segment_size: 116
    .language:       OpenCL C
    .language_version:
      - 2
      - 0
    .max_flat_workgroup_size: 1024
    .name:           _ZL19rocblas_hpmv_kernelILi64ELi16EPK19rocblas_complex_numIdES3_PS1_EvbiT1_T2_llS6_lllS5_T3_llli
    .private_segment_fixed_size: 0
    .sgpr_count:     50
    .sgpr_spill_count: 0
    .symbol:         _ZL19rocblas_hpmv_kernelILi64ELi16EPK19rocblas_complex_numIdES3_PS1_EvbiT1_T2_llS6_lllS5_T3_llli.kd
    .uniform_work_group_size: 1
    .uses_dynamic_stack: false
    .vgpr_count:     24
    .vgpr_spill_count: 0
    .wavefront_size: 64
  - .args:
      - .offset:         0
        .size:           1
        .value_kind:     by_value
      - .offset:         4
        .size:           4
        .value_kind:     by_value
      - .offset:         8
        .size:           16
        .value_kind:     by_value
      - .address_space:  global
        .offset:         24
        .size:           8
        .value_kind:     global_buffer
      - .offset:         32
        .size:           8
        .value_kind:     by_value
      - .offset:         40
        .size:           8
        .value_kind:     by_value
      - .address_space:  global
        .offset:         48
        .size:           8
        .value_kind:     global_buffer
      - .offset:         56
        .size:           8
        .value_kind:     by_value
      - .offset:         64
        .size:           8
        .value_kind:     by_value
      - .offset:         72
        .size:           8
        .value_kind:     by_value
      - .offset:         80
        .size:           16
        .value_kind:     by_value
      - .address_space:  global
        .offset:         96
        .size:           8
        .value_kind:     global_buffer
      - .offset:         104
        .size:           8
        .value_kind:     by_value
      - .offset:         112
        .size:           8
        .value_kind:     by_value
      - .offset:         120
        .size:           8
        .value_kind:     by_value
      - .offset:         128
        .size:           4
        .value_kind:     by_value
    .group_segment_fixed_size: 16384
    .kernarg_segment_align: 8
    .kernarg_segment_size: 132
    .language:       OpenCL C
    .language_version:
      - 2
      - 0
    .max_flat_workgroup_size: 1024
    .name:           _ZL19rocblas_hpmv_kernelILi64ELi16E19rocblas_complex_numIdEPKS1_PS1_EvbiT1_T2_llS6_lllS5_T3_llli
    .private_segment_fixed_size: 0
    .sgpr_count:     50
    .sgpr_spill_count: 0
    .symbol:         _ZL19rocblas_hpmv_kernelILi64ELi16E19rocblas_complex_numIdEPKS1_PS1_EvbiT1_T2_llS6_lllS5_T3_llli.kd
    .uniform_work_group_size: 1
    .uses_dynamic_stack: false
    .vgpr_count:     24
    .vgpr_spill_count: 0
    .wavefront_size: 64
  - .args:
      - .offset:         0
        .size:           1
        .value_kind:     by_value
      - .offset:         4
        .size:           4
        .value_kind:     by_value
      - .address_space:  global
        .offset:         8
        .size:           8
        .value_kind:     global_buffer
      - .address_space:  global
        .offset:         16
        .size:           8
        .value_kind:     global_buffer
      - .offset:         24
        .size:           8
        .value_kind:     by_value
      - .offset:         32
        .size:           8
        .value_kind:     by_value
      - .address_space:  global
        .offset:         40
        .size:           8
        .value_kind:     global_buffer
      - .offset:         48
        .size:           8
        .value_kind:     by_value
      - .offset:         56
        .size:           8
        .value_kind:     by_value
      - .offset:         64
        .size:           8
        .value_kind:     by_value
      - .address_space:  global
        .offset:         72
        .size:           8
        .value_kind:     global_buffer
      - .address_space:  global
        .offset:         80
        .size:           8
        .value_kind:     global_buffer
      - .offset:         88
        .size:           8
        .value_kind:     by_value
      - .offset:         96
        .size:           8
        .value_kind:     by_value
      - .offset:         104
        .size:           8
        .value_kind:     by_value
      - .offset:         112
        .size:           4
        .value_kind:     by_value
    .group_segment_fixed_size: 8192
    .kernarg_segment_align: 8
    .kernarg_segment_size: 116
    .language:       OpenCL C
    .language_version:
      - 2
      - 0
    .max_flat_workgroup_size: 1024
    .name:           _ZL19rocblas_hpmv_kernelILi64ELi16EPK19rocblas_complex_numIfEPKS3_PKPS1_EvbiT1_T2_llSA_lllS9_T3_llli
    .private_segment_fixed_size: 0
    .sgpr_count:     35
    .sgpr_spill_count: 0
    .symbol:         _ZL19rocblas_hpmv_kernelILi64ELi16EPK19rocblas_complex_numIfEPKS3_PKPS1_EvbiT1_T2_llSA_lllS9_T3_llli.kd
    .uniform_work_group_size: 1
    .uses_dynamic_stack: false
    .vgpr_count:     19
    .vgpr_spill_count: 0
    .wavefront_size: 64
  - .args:
      - .offset:         0
        .size:           1
        .value_kind:     by_value
      - .offset:         4
        .size:           4
        .value_kind:     by_value
      - .offset:         8
        .size:           8
        .value_kind:     by_value
      - .address_space:  global
        .offset:         16
        .size:           8
        .value_kind:     global_buffer
      - .offset:         24
        .size:           8
        .value_kind:     by_value
      - .offset:         32
        .size:           8
        .value_kind:     by_value
      - .address_space:  global
        .offset:         40
        .size:           8
        .value_kind:     global_buffer
      - .offset:         48
        .size:           8
        .value_kind:     by_value
      - .offset:         56
        .size:           8
        .value_kind:     by_value
      - .offset:         64
        .size:           8
        .value_kind:     by_value
      - .offset:         72
        .size:           8
        .value_kind:     by_value
      - .address_space:  global
        .offset:         80
        .size:           8
        .value_kind:     global_buffer
      - .offset:         88
        .size:           8
        .value_kind:     by_value
      - .offset:         96
        .size:           8
        .value_kind:     by_value
      - .offset:         104
        .size:           8
        .value_kind:     by_value
      - .offset:         112
        .size:           4
        .value_kind:     by_value
    .group_segment_fixed_size: 8192
    .kernarg_segment_align: 8
    .kernarg_segment_size: 116
    .language:       OpenCL C
    .language_version:
      - 2
      - 0
    .max_flat_workgroup_size: 1024
    .name:           _ZL19rocblas_hpmv_kernelILi64ELi16E19rocblas_complex_numIfEPKPKS1_PKPS1_EvbiT1_T2_llSA_lllS9_T3_llli
    .private_segment_fixed_size: 0
    .sgpr_count:     35
    .sgpr_spill_count: 0
    .symbol:         _ZL19rocblas_hpmv_kernelILi64ELi16E19rocblas_complex_numIfEPKPKS1_PKPS1_EvbiT1_T2_llSA_lllS9_T3_llli.kd
    .uniform_work_group_size: 1
    .uses_dynamic_stack: false
    .vgpr_count:     19
    .vgpr_spill_count: 0
    .wavefront_size: 64
  - .args:
      - .offset:         0
        .size:           1
        .value_kind:     by_value
      - .offset:         4
        .size:           4
        .value_kind:     by_value
      - .address_space:  global
        .offset:         8
        .size:           8
        .value_kind:     global_buffer
      - .address_space:  global
        .offset:         16
        .size:           8
        .value_kind:     global_buffer
      - .offset:         24
        .size:           8
        .value_kind:     by_value
      - .offset:         32
        .size:           8
        .value_kind:     by_value
      - .address_space:  global
        .offset:         40
        .size:           8
        .value_kind:     global_buffer
      - .offset:         48
        .size:           8
        .value_kind:     by_value
      - .offset:         56
        .size:           8
        .value_kind:     by_value
      - .offset:         64
        .size:           8
        .value_kind:     by_value
      - .address_space:  global
        .offset:         72
        .size:           8
        .value_kind:     global_buffer
      - .address_space:  global
        .offset:         80
        .size:           8
        .value_kind:     global_buffer
      - .offset:         88
        .size:           8
        .value_kind:     by_value
      - .offset:         96
        .size:           8
        .value_kind:     by_value
      - .offset:         104
        .size:           8
        .value_kind:     by_value
      - .offset:         112
        .size:           4
        .value_kind:     by_value
    .group_segment_fixed_size: 16384
    .kernarg_segment_align: 8
    .kernarg_segment_size: 116
    .language:       OpenCL C
    .language_version:
      - 2
      - 0
    .max_flat_workgroup_size: 1024
    .name:           _ZL19rocblas_hpmv_kernelILi64ELi16EPK19rocblas_complex_numIdEPKS3_PKPS1_EvbiT1_T2_llSA_lllS9_T3_llli
    .private_segment_fixed_size: 0
    .sgpr_count:     42
    .sgpr_spill_count: 0
    .symbol:         _ZL19rocblas_hpmv_kernelILi64ELi16EPK19rocblas_complex_numIdEPKS3_PKPS1_EvbiT1_T2_llSA_lllS9_T3_llli.kd
    .uniform_work_group_size: 1
    .uses_dynamic_stack: false
    .vgpr_count:     28
    .vgpr_spill_count: 0
    .wavefront_size: 64
  - .args:
      - .offset:         0
        .size:           1
        .value_kind:     by_value
      - .offset:         4
        .size:           4
        .value_kind:     by_value
      - .offset:         8
        .size:           16
        .value_kind:     by_value
      - .address_space:  global
        .offset:         24
        .size:           8
        .value_kind:     global_buffer
      - .offset:         32
        .size:           8
        .value_kind:     by_value
      - .offset:         40
        .size:           8
        .value_kind:     by_value
      - .address_space:  global
        .offset:         48
        .size:           8
        .value_kind:     global_buffer
      - .offset:         56
        .size:           8
        .value_kind:     by_value
      - .offset:         64
        .size:           8
        .value_kind:     by_value
      - .offset:         72
        .size:           8
        .value_kind:     by_value
      - .offset:         80
        .size:           16
        .value_kind:     by_value
      - .address_space:  global
        .offset:         96
        .size:           8
        .value_kind:     global_buffer
      - .offset:         104
        .size:           8
        .value_kind:     by_value
      - .offset:         112
        .size:           8
        .value_kind:     by_value
      - .offset:         120
        .size:           8
        .value_kind:     by_value
      - .offset:         128
        .size:           4
        .value_kind:     by_value
    .group_segment_fixed_size: 16384
    .kernarg_segment_align: 8
    .kernarg_segment_size: 132
    .language:       OpenCL C
    .language_version:
      - 2
      - 0
    .max_flat_workgroup_size: 1024
    .name:           _ZL19rocblas_hpmv_kernelILi64ELi16E19rocblas_complex_numIdEPKPKS1_PKPS1_EvbiT1_T2_llSA_lllS9_T3_llli
    .private_segment_fixed_size: 0
    .sgpr_count:     42
    .sgpr_spill_count: 0
    .symbol:         _ZL19rocblas_hpmv_kernelILi64ELi16E19rocblas_complex_numIdEPKPKS1_PKPS1_EvbiT1_T2_llSA_lllS9_T3_llli.kd
    .uniform_work_group_size: 1
    .uses_dynamic_stack: false
    .vgpr_count:     28
    .vgpr_spill_count: 0
    .wavefront_size: 64
amdhsa.target:   amdgcn-amd-amdhsa--gfx906
amdhsa.version:
  - 1
  - 2
...

	.end_amdgpu_metadata
